;; amdgpu-corpus repo=ROCm/rocFFT kind=compiled arch=gfx1201 opt=O3
	.text
	.amdgcn_target "amdgcn-amd-amdhsa--gfx1201"
	.amdhsa_code_object_version 6
	.protected	bluestein_single_fwd_len594_dim1_half_op_CI_CI ; -- Begin function bluestein_single_fwd_len594_dim1_half_op_CI_CI
	.globl	bluestein_single_fwd_len594_dim1_half_op_CI_CI
	.p2align	8
	.type	bluestein_single_fwd_len594_dim1_half_op_CI_CI,@function
bluestein_single_fwd_len594_dim1_half_op_CI_CI: ; @bluestein_single_fwd_len594_dim1_half_op_CI_CI
; %bb.0:
	s_load_b128 s[8:11], s[0:1], 0x28
	v_mul_u32_u24_e32 v1, 0x296, v0
	s_mov_b32 s2, exec_lo
	v_mov_b32_e32 v5, 0
	s_delay_alu instid0(VALU_DEP_2) | instskip(NEXT) | instid1(VALU_DEP_1)
	v_lshrrev_b32_e32 v1, 16, v1
	v_add_nc_u32_e32 v4, ttmp9, v1
	s_wait_kmcnt 0x0
	s_delay_alu instid0(VALU_DEP_1)
	v_cmpx_gt_u64_e64 s[8:9], v[4:5]
	s_cbranch_execz .LBB0_15
; %bb.1:
	s_clause 0x1
	s_load_b64 s[12:13], s[0:1], 0x0
	s_load_b64 s[8:9], s[0:1], 0x38
	v_mul_lo_u16 v1, 0x63, v1
	s_delay_alu instid0(VALU_DEP_1) | instskip(NEXT) | instid1(VALU_DEP_1)
	v_sub_nc_u16 v0, v0, v1
	v_and_b32_e32 v24, 0xffff, v0
	v_cmp_gt_u16_e32 vcc_lo, 54, v0
	s_delay_alu instid0(VALU_DEP_2)
	v_lshlrev_b32_e32 v23, 2, v24
	s_and_saveexec_b32 s3, vcc_lo
	s_cbranch_execz .LBB0_3
; %bb.2:
	s_load_b64 s[4:5], s[0:1], 0x18
	s_wait_kmcnt 0x0
	s_load_b128 s[4:7], s[4:5], 0x0
	s_wait_kmcnt 0x0
	v_mad_co_u64_u32 v[0:1], null, s6, v4, 0
	v_mad_co_u64_u32 v[2:3], null, s4, v24, 0
	s_delay_alu instid0(VALU_DEP_1) | instskip(NEXT) | instid1(VALU_DEP_2)
	v_mad_co_u64_u32 v[5:6], null, s7, v4, v[1:2]
	v_mad_co_u64_u32 v[6:7], null, s5, v24, v[3:4]
	s_mul_u64 s[4:5], s[4:5], 0xd8
	s_clause 0x7
	global_load_b32 v7, v23, s[12:13]
	global_load_b32 v8, v23, s[12:13] offset:216
	global_load_b32 v9, v23, s[12:13] offset:432
	;; [unrolled: 1-line block ×7, first 2 shown]
	v_mov_b32_e32 v1, v5
	v_mov_b32_e32 v3, v6
	s_delay_alu instid0(VALU_DEP_2) | instskip(NEXT) | instid1(VALU_DEP_2)
	v_lshlrev_b64_e32 v[0:1], 2, v[0:1]
	v_lshlrev_b64_e32 v[2:3], 2, v[2:3]
	s_delay_alu instid0(VALU_DEP_2) | instskip(NEXT) | instid1(VALU_DEP_1)
	v_add_co_u32 v0, s2, s10, v0
	v_add_co_ci_u32_e64 v1, s2, s11, v1, s2
	s_delay_alu instid0(VALU_DEP_2) | instskip(SKIP_1) | instid1(VALU_DEP_2)
	v_add_co_u32 v0, s2, v0, v2
	s_wait_alu 0xf1ff
	v_add_co_ci_u32_e64 v1, s2, v1, v3, s2
	global_load_b32 v15, v[0:1], off
	s_wait_alu 0xfffe
	v_add_co_u32 v0, s2, v0, s4
	s_wait_alu 0xf1ff
	v_add_co_ci_u32_e64 v1, s2, s5, v1, s2
	s_clause 0x2
	global_load_b32 v16, v23, s[12:13] offset:1728
	global_load_b32 v17, v23, s[12:13] offset:1944
	;; [unrolled: 1-line block ×3, first 2 shown]
	v_add_co_u32 v2, s2, v0, s4
	s_wait_alu 0xf1ff
	v_add_co_ci_u32_e64 v3, s2, s5, v1, s2
	global_load_b32 v19, v[0:1], off
	v_add_co_u32 v0, s2, v2, s4
	s_wait_alu 0xf1ff
	v_add_co_ci_u32_e64 v1, s2, s5, v3, s2
	s_clause 0x1
	global_load_b32 v20, v[2:3], off
	global_load_b32 v21, v[0:1], off
	v_add_co_u32 v0, s2, v0, s4
	s_wait_alu 0xf1ff
	v_add_co_ci_u32_e64 v1, s2, s5, v1, s2
	s_delay_alu instid0(VALU_DEP_2) | instskip(SKIP_1) | instid1(VALU_DEP_2)
	v_add_co_u32 v2, s2, v0, s4
	s_wait_alu 0xf1ff
	v_add_co_ci_u32_e64 v3, s2, s5, v1, s2
	global_load_b32 v22, v[0:1], off
	v_add_co_u32 v0, s2, v2, s4
	s_wait_alu 0xf1ff
	v_add_co_ci_u32_e64 v1, s2, s5, v3, s2
	global_load_b32 v25, v[2:3], off
	;; [unrolled: 4-line block ×4, first 2 shown]
	v_add_co_u32 v2, s2, v0, s4
	s_wait_alu 0xf1ff
	v_add_co_ci_u32_e64 v3, s2, s5, v1, s2
	s_delay_alu instid0(VALU_DEP_2) | instskip(SKIP_1) | instid1(VALU_DEP_2)
	v_add_co_u32 v5, s2, v2, s4
	s_wait_alu 0xf1ff
	v_add_co_ci_u32_e64 v6, s2, s5, v3, s2
	global_load_b32 v0, v[0:1], off
	global_load_b32 v1, v[2:3], off
	;; [unrolled: 1-line block ×3, first 2 shown]
	v_add_nc_u32_e32 v3, 0x200, v23
	s_wait_loadcnt 0x15
	v_lshrrev_b32_e32 v5, 16, v7
	s_wait_loadcnt 0x14
	v_lshrrev_b32_e32 v6, 16, v8
	;; [unrolled: 2-line block ×9, first 2 shown]
	v_mul_f16_e32 v37, v5, v15
	s_wait_loadcnt 0xc
	v_lshrrev_b32_e32 v35, 16, v16
	s_wait_loadcnt 0xb
	v_lshrrev_b32_e32 v36, 16, v17
	v_mul_f16_e32 v5, v5, v33
	v_fma_f16 v33, v7, v33, -v37
	s_wait_loadcnt 0xa
	v_lshrrev_b32_e32 v39, 16, v18
	s_wait_loadcnt 0x9
	v_lshrrev_b32_e32 v38, 16, v19
	v_mul_f16_e32 v40, v6, v19
	v_fmac_f16_e32 v5, v7, v15
	s_delay_alu instid0(VALU_DEP_3)
	v_mul_f16_e32 v6, v6, v38
	s_wait_loadcnt 0x8
	v_lshrrev_b32_e32 v7, 16, v20
	v_fma_f16 v15, v8, v38, -v40
	v_mul_f16_e32 v37, v28, v20
	v_pack_b32_f16 v5, v5, v33
	v_fmac_f16_e32 v6, v8, v19
	v_mul_f16_e32 v8, v28, v7
	s_wait_loadcnt 0x7
	v_lshrrev_b32_e32 v19, 16, v21
	v_mul_f16_e32 v28, v29, v21
	v_fma_f16 v7, v9, v7, -v37
	v_pack_b32_f16 v6, v6, v15
	v_fmac_f16_e32 v8, v9, v20
	v_mul_f16_e32 v9, v29, v19
	v_fma_f16 v15, v10, v19, -v28
	s_wait_loadcnt 0x6
	v_lshrrev_b32_e32 v19, 16, v22
	v_mul_f16_e32 v20, v30, v22
	ds_store_2addr_b32 v23, v5, v6 offset1:54
	v_fmac_f16_e32 v9, v10, v21
	v_pack_b32_f16 v5, v8, v7
	v_mul_f16_e32 v6, v30, v19
	s_wait_loadcnt 0x5
	v_lshrrev_b32_e32 v7, 16, v25
	v_fma_f16 v8, v11, v19, -v20
	v_mul_f16_e32 v10, v31, v25
	v_pack_b32_f16 v9, v9, v15
	v_fmac_f16_e32 v6, v11, v22
	s_wait_loadcnt 0x4
	v_lshrrev_b32_e32 v15, 16, v26
	v_mul_f16_e32 v11, v31, v7
	v_fma_f16 v7, v12, v7, -v10
	v_mul_f16_e32 v10, v32, v26
	v_pack_b32_f16 v6, v6, v8
	v_mul_f16_e32 v8, v32, v15
	v_fmac_f16_e32 v11, v12, v25
	s_wait_loadcnt 0x3
	v_lshrrev_b32_e32 v12, 16, v27
	v_fma_f16 v10, v13, v15, -v10
	v_mul_f16_e32 v19, v34, v27
	v_fmac_f16_e32 v8, v13, v26
	v_pack_b32_f16 v7, v11, v7
	v_mul_f16_e32 v11, v34, v12
	s_wait_loadcnt 0x2
	v_lshrrev_b32_e32 v13, 16, v0
	v_mul_f16_e32 v15, v35, v0
	v_pack_b32_f16 v8, v8, v10
	s_wait_loadcnt 0x1
	v_lshrrev_b32_e32 v10, 16, v1
	v_fma_f16 v12, v14, v12, -v19
	v_fmac_f16_e32 v11, v14, v27
	s_wait_loadcnt 0x0
	v_lshrrev_b32_e32 v14, 16, v2
	v_mul_f16_e32 v19, v35, v13
	v_fma_f16 v13, v16, v13, -v15
	v_mul_f16_e32 v15, v36, v1
	v_mul_f16_e32 v20, v36, v10
	;; [unrolled: 1-line block ×4, first 2 shown]
	v_fmac_f16_e32 v19, v16, v0
	v_fma_f16 v0, v17, v10, -v15
	v_add_nc_u32_e32 v10, 0x400, v23
	v_fmac_f16_e32 v20, v17, v1
	v_fmac_f16_e32 v21, v18, v2
	v_fma_f16 v1, v18, v14, -v22
	v_pack_b32_f16 v2, v11, v12
	v_pack_b32_f16 v11, v19, v13
	;; [unrolled: 1-line block ×3, first 2 shown]
	s_delay_alu instid0(VALU_DEP_4)
	v_pack_b32_f16 v1, v21, v1
	ds_store_2addr_b32 v23, v5, v9 offset0:108 offset1:162
	ds_store_2addr_b32 v3, v6, v7 offset0:88 offset1:142
	;; [unrolled: 1-line block ×4, first 2 shown]
	ds_store_b32 v23, v1 offset:2160
.LBB0_3:
	s_or_b32 exec_lo, exec_lo, s3
	s_clause 0x1
	s_load_b64 s[2:3], s[0:1], 0x20
	s_load_b64 s[4:5], s[0:1], 0x8
	v_mov_b32_e32 v2, 0
                                        ; kill: def $vgpr0 killed $sgpr0 killed $exec
	global_wb scope:SCOPE_SE
	s_wait_dscnt 0x0
	s_wait_kmcnt 0x0
	s_barrier_signal -1
	s_barrier_wait -1
	global_inv scope:SCOPE_SE
                                        ; implicit-def: $vgpr15
                                        ; implicit-def: $vgpr1
                                        ; implicit-def: $vgpr10
                                        ; implicit-def: $vgpr12
                                        ; implicit-def: $vgpr14
	s_and_saveexec_b32 s0, vcc_lo
	s_cbranch_execz .LBB0_5
; %bb.4:
	v_add_nc_u32_e32 v0, 0x200, v23
	v_add_nc_u32_e32 v1, 0x400, v23
	ds_load_2addr_b32 v[2:3], v23 offset1:54
	ds_load_2addr_b32 v[13:14], v23 offset0:108 offset1:162
	ds_load_2addr_b32 v[11:12], v0 offset0:88 offset1:142
	;; [unrolled: 1-line block ×4, first 2 shown]
	ds_load_b32 v15, v23 offset:2160
.LBB0_5:
	s_wait_alu 0xfffe
	s_or_b32 exec_lo, exec_lo, s0
	s_wait_dscnt 0x0
	v_pk_add_f16 v5, v3, v15 neg_lo:[0,1] neg_hi:[0,1]
	v_pk_add_f16 v47, v15, v3
	v_pk_add_f16 v6, v13, v1 neg_lo:[0,1] neg_hi:[0,1]
	v_pk_add_f16 v54, v1, v13
	v_lshrrev_b32_e32 v17, 16, v2
	v_lshrrev_b32_e32 v7, 16, v5
	v_pk_mul_f16 v8, 0x3abb36a6, v47
	v_lshrrev_b32_e32 v29, 16, v6
	v_lshrrev_b32_e32 v53, 16, v47
	v_mul_f16_e32 v25, 0xbb47, v5
	v_mul_f16_e32 v18, 0xb853, v7
	;; [unrolled: 1-line block ×5, first 2 shown]
	v_pk_fma_f16 v16, 0xbb47b853, v5, v8 op_sel:[0,0,1] op_sel_hi:[1,1,0] neg_lo:[0,1,0] neg_hi:[0,1,0]
	v_fmamk_f16 v20, v47, 0x3abb, v18
	v_pk_fma_f16 v19, 0xbb47b853, v5, v8 op_sel:[0,0,1] op_sel_hi:[1,1,0]
	v_fma_f16 v8, v53, 0x36a6, -v25
	v_fma_f16 v22, v53, 0xb08e, -v38
	v_lshrrev_b32_e32 v57, 16, v54
	v_add_f16_e32 v26, v20, v2
	v_mul_f16_e32 v20, 0xbb47, v29
	v_mul_f16_e32 v33, 0xba0c, v6
	v_fmamk_f16 v21, v47, 0xb08e, v35
	v_mul_f16_e32 v42, 0xba0c, v7
	v_add_f16_e32 v8, v8, v17
	v_fmamk_f16 v30, v54, 0x36a6, v20
	v_add_f16_e32 v28, v22, v17
	v_fma_f16 v22, v53, 0xb93d, -v44
	v_mul_f16_e32 v63, 0xb482, v5
	v_mul_f16_e32 v40, 0x3482, v29
	v_add_f16_e32 v26, v30, v26
	v_fma_f16 v30, v57, 0xb93d, -v33
	v_mul_f16_e32 v43, 0x3482, v6
	v_pk_add_f16 v41, v14, v0 neg_lo:[0,1] neg_hi:[0,1]
	v_add_f16_e32 v27, v21, v2
	v_fmamk_f16 v21, v47, 0xb93d, v42
	v_mul_f16_e32 v55, 0xb482, v7
	v_add_f16_e32 v7, v22, v17
	v_fma_f16 v22, v53, 0xbbad, -v63
	v_add_f16_e32 v8, v30, v8
	v_fmamk_f16 v30, v54, 0xbbad, v40
	v_fma_f16 v34, v57, 0xbbad, -v43
	v_mul_f16_e32 v50, 0x3beb, v29
	v_mul_f16_e32 v59, 0x3beb, v6
	v_lshrrev_b32_e32 v45, 16, v41
	v_add_f16_e32 v5, v21, v2
	v_fmamk_f16 v21, v47, 0xbbad, v55
	v_add_f16_e32 v32, v22, v17
	v_pk_mul_f16 v22, 0x36a6b93d, v54
	v_add_f16_e32 v27, v30, v27
	v_add_f16_e32 v28, v34, v28
	v_fmamk_f16 v30, v54, 0xb08e, v50
	v_fma_f16 v36, v57, 0xb08e, -v59
	v_mul_f16_e32 v66, 0x3853, v29
	v_pk_add_f16 v64, v0, v14
	v_mul_f16_e32 v34, 0xbbeb, v45
	v_add_f16_e32 v31, v21, v2
	v_pk_fma_f16 v21, 0xba0cbb47, v6, v22 op_sel:[0,0,1] op_sel_hi:[1,1,0] neg_lo:[0,1,0] neg_hi:[0,1,0]
	v_pk_fma_f16 v22, 0xba0cbb47, v6, v22 op_sel:[0,0,1] op_sel_hi:[1,1,0]
	v_mul_f16_e32 v71, 0x3853, v6
	v_add_f16_e32 v5, v30, v5
	v_add_f16_e32 v6, v36, v7
	v_fmamk_f16 v7, v54, 0x3abb, v66
	v_fmamk_f16 v30, v64, 0xb08e, v34
	v_lshrrev_b32_e32 v67, 16, v64
	v_mul_f16_e32 v39, 0x3482, v41
	v_fma_f16 v29, v57, 0x3abb, -v71
	v_add_f16_e32 v7, v7, v31
	v_pk_mul_f16 v31, 0xb08ebbad, v64
	v_add_f16_e32 v26, v30, v26
	v_fma_f16 v30, v67, 0xbbad, -v39
	v_mul_f16_e32 v48, 0x3b47, v45
	v_mul_f16_e32 v52, 0x3b47, v41
	v_add_f16_e32 v29, v29, v32
	v_pk_fma_f16 v36, 0x3482bbeb, v41, v31 op_sel:[0,0,1] op_sel_hi:[1,1,0] neg_lo:[0,1,0] neg_hi:[0,1,0]
	v_pk_fma_f16 v37, 0x3482bbeb, v41, v31 op_sel:[0,0,1] op_sel_hi:[1,1,0]
	v_add_f16_e32 v8, v30, v8
	v_fmamk_f16 v30, v64, 0x36a6, v48
	v_fma_f16 v31, v67, 0x36a6, -v52
	v_mul_f16_e32 v58, 0xb853, v45
	v_pk_add_f16 v32, v11, v10 neg_lo:[0,1] neg_hi:[0,1]
	v_mul_f16_e32 v68, 0xb853, v41
	v_add_f16_e32 v27, v30, v27
	v_add_f16_e32 v28, v31, v28
	v_fmamk_f16 v30, v64, 0x3abb, v58
	v_lshrrev_b32_e32 v31, 16, v32
	v_mul_f16_e32 v75, 0xba0c, v45
	v_pk_add_f16 v73, v10, v11
	v_fma_f16 v46, v67, 0x3abb, -v68
	v_mul_f16_e32 v77, 0xba0c, v41
	v_mul_f16_e32 v41, 0xba0c, v31
	v_add_f16_e32 v5, v30, v5
	v_fmamk_f16 v30, v64, 0xb93d, v75
	v_lshrrev_b32_e32 v74, 16, v73
	v_mul_f16_e32 v49, 0x3beb, v32
	v_add_f16_e32 v6, v46, v6
	v_fma_f16 v45, v67, 0xb93d, -v77
	v_fmamk_f16 v46, v73, 0xb93d, v41
	v_pk_mul_f16 v56, 0xb93db08e, v73
	v_add_f16_e32 v7, v30, v7
	v_fma_f16 v30, v74, 0xb08e, -v49
	v_mul_f16_e32 v51, 0xb853, v31
	v_mul_f16_e32 v65, 0xb853, v32
	;; [unrolled: 1-line block ×3, first 2 shown]
	v_add_f16_e32 v29, v45, v29
	v_add_f16_e32 v26, v46, v26
	v_pk_fma_f16 v45, 0x3bebba0c, v32, v56 op_sel:[0,0,1] op_sel_hi:[1,1,0] neg_lo:[0,1,0] neg_hi:[0,1,0]
	v_pk_fma_f16 v46, 0x3bebba0c, v32, v56 op_sel:[0,0,1] op_sel_hi:[1,1,0]
	v_add_f16_e32 v8, v30, v8
	v_fmamk_f16 v30, v73, 0x3abb, v51
	v_mul_f16_e32 v72, 0xb482, v32
	v_fma_f16 v56, v74, 0x3abb, -v65
	v_mul_f16_e32 v78, 0x3b47, v31
	v_fmamk_f16 v31, v73, 0xbbad, v69
	v_add_f16_e32 v30, v30, v27
	v_fma_f16 v27, v74, 0xbbad, -v72
	v_add_f16_e32 v86, v56, v28
	v_fmamk_f16 v28, v73, 0x36a6, v78
	v_add_f16_e32 v31, v31, v5
	v_mul_f16_e32 v83, 0x3b47, v32
	v_lshrrev_b32_e32 v5, 16, v19
	v_add_f16_e32 v32, v27, v6
	v_pk_add_f16 v85, v12, v9 neg_lo:[0,1] neg_hi:[0,1]
	v_add_f16_e32 v7, v28, v7
	v_fma_f16 v6, v74, 0x36a6, -v83
	v_pk_add_f16 v79, v9, v12
	v_add_f16_e32 v27, v16, v17
	v_add_f16_e32 v5, v5, v2
	v_lshrrev_b32_e32 v28, 16, v22
	v_lshrrev_b32_e32 v84, 16, v85
	v_add_f16_e32 v87, v6, v29
	v_pk_mul_f16 v6, 0xbbad3abb, v79
	v_add_f16_e32 v27, v21, v27
	v_add_f16_e32 v5, v28, v5
	v_lshrrev_b32_e32 v28, 16, v37
	v_mul_f16_e32 v56, 0xb482, v84
	v_lshrrev_b32_e32 v81, 16, v79
	v_add_f16_e32 v27, v36, v27
	v_pk_fma_f16 v61, 0x3853b482, v85, v6 op_sel:[0,0,1] op_sel_hi:[1,1,0]
	v_add_f16_e32 v5, v28, v5
	v_lshrrev_b32_e32 v28, 16, v46
	v_mul_f16_e32 v62, 0x3853, v85
	v_fmamk_f16 v29, v79, 0xbbad, v56
	v_pk_fma_f16 v60, 0x3853b482, v85, v6 op_sel:[0,0,1] op_sel_hi:[1,1,0] neg_lo:[0,1,0] neg_hi:[0,1,0]
	v_add_f16_e32 v6, v45, v27
	v_mul_f16_e32 v70, 0xba0c, v84
	v_add_f16_e32 v5, v28, v5
	v_lshrrev_b32_e32 v76, 16, v61
	v_fma_f16 v80, v81, 0x3abb, -v62
	v_add_f16_e32 v27, v29, v26
	v_fmamk_f16 v26, v79, 0xb93d, v70
	v_add_f16_e32 v28, v60, v6
	v_add_f16_e32 v6, v76, v5
	;; [unrolled: 1-line block ×3, first 2 shown]
	v_mul_f16_e32 v76, 0xba0c, v85
	v_mul_f16_e32 v80, 0x3b47, v84
	;; [unrolled: 1-line block ×5, first 2 shown]
	v_add_f16_e32 v5, v26, v30
	v_fma_f16 v8, v81, 0xb93d, -v76
	v_fmamk_f16 v26, v79, 0x36a6, v80
	v_fma_f16 v88, v81, 0x36a6, -v82
	v_fmamk_f16 v89, v79, 0xb08e, v84
	v_fma_f16 v90, v81, 0xb08e, -v85
	v_add_f16_e32 v30, v8, v86
	v_add_f16_e32 v8, v26, v31
	;; [unrolled: 1-line block ×5, first 2 shown]
	v_mul_lo_u16 v26, v24, 11
	global_wb scope:SCOPE_SE
	s_barrier_signal -1
	s_barrier_wait -1
	global_inv scope:SCOPE_SE
	s_and_saveexec_b32 s0, vcc_lo
	s_cbranch_execz .LBB0_7
; %bb.6:
	v_mul_f16_e32 v86, 0xbbad, v53
	v_mul_f16_e32 v87, 0x3abb, v47
	;; [unrolled: 1-line block ×5, first 2 shown]
	v_add_f16_e32 v63, v63, v86
	v_mul_f16_e32 v86, 0x3abb, v57
	v_mul_f16_e32 v92, 0xb93d, v67
	;; [unrolled: 1-line block ×3, first 2 shown]
	v_sub_f16_e32 v47, v47, v55
	v_add_f16_e32 v63, v63, v17
	v_add_f16_e32 v71, v71, v86
	;; [unrolled: 1-line block ×3, first 2 shown]
	v_mul_f16_e32 v55, 0x36a6, v74
	v_mul_f16_e32 v90, 0xb08e, v53
	v_mul_f16_e32 v53, 0xb93d, v53
	v_add_f16_e32 v63, v71, v63
	v_pk_add_f16 v3, v3, v2
	v_add_f16_e32 v55, v83, v55
	v_mul_f16_e32 v86, 0x36a6, v54
	v_mul_f16_e32 v93, 0xb93d, v57
	v_add_f16_e32 v63, v77, v63
	v_mul_f16_e32 v94, 0xbbad, v54
	v_mul_f16_e32 v92, 0xb08e, v54
	;; [unrolled: 1-line block ×3, first 2 shown]
	v_add_f16_e32 v44, v44, v53
	v_add_f16_e32 v55, v55, v63
	v_mul_f16_e32 v63, 0xb08e, v81
	v_add_f16_e32 v38, v38, v90
	v_add_f16_e32 v25, v25, v88
	v_pk_add_f16 v3, v13, v3
	v_sub_f16_e32 v54, v54, v66
	v_mul_f16_e32 v66, 0xbbad, v67
	v_add_f16_e32 v63, v85, v63
	v_mul_f16_e32 v85, 0x36a6, v73
	v_add_f16_e32 v44, v44, v17
	v_add_f16_e32 v38, v38, v17
	;; [unrolled: 1-line block ×4, first 2 shown]
	v_pk_add_f16 v3, v14, v3
	v_sub_f16_e32 v78, v85, v78
	v_mul_f16_e32 v85, 0xb08e, v74
	v_add_f16_e32 v47, v47, v2
	v_add_f16_e32 v13, v25, v17
	;; [unrolled: 1-line block ×3, first 2 shown]
	v_mul_f16_e32 v83, 0xb93d, v64
	v_pk_add_f16 v3, v11, v3
	v_sub_f16_e32 v42, v91, v42
	v_sub_f16_e32 v35, v89, v35
	;; [unrolled: 1-line block ×3, first 2 shown]
	v_add_f16_e32 v13, v17, v13
	v_add_f16_e32 v17, v49, v85
	v_bfi_b32 v16, 0xffff, v19, v16
	v_mul_f16_e32 v71, 0xbbad, v57
	v_mul_f16_e32 v57, 0xb08e, v57
	v_add_f16_e32 v47, v54, v47
	v_sub_f16_e32 v75, v83, v75
	v_pk_add_f16 v3, v12, v3
	v_mul_f16_e32 v77, 0xb08e, v64
	v_add_f16_e32 v42, v42, v2
	v_add_f16_e32 v35, v35, v2
	;; [unrolled: 1-line block ×3, first 2 shown]
	v_sub_f16_e32 v14, v86, v20
	v_add_f16_e32 v13, v17, v13
	v_bfi_b32 v17, 0xffff, v22, v21
	v_pk_add_f16 v2, v16, v2 op_sel:[0,1] op_sel_hi:[1,0]
	v_mul_f16_e32 v54, 0x36a6, v64
	v_mul_f16_e32 v83, 0x36a6, v67
	;; [unrolled: 1-line block ×4, first 2 shown]
	v_add_f16_e32 v57, v59, v57
	v_sub_f16_e32 v50, v92, v50
	v_add_f16_e32 v43, v43, v71
	v_sub_f16_e32 v40, v94, v40
	v_add_f16_e32 v47, v75, v47
	v_pk_add_f16 v3, v9, v3
	v_mul_f16_e32 v75, 0xb93d, v73
	v_add_f16_e32 v11, v14, v11
	v_sub_f16_e32 v12, v77, v34
	v_bfi_b32 v14, 0xffff, v37, v36
	v_pk_add_f16 v2, v17, v2
	v_mul_f16_e32 v53, 0x3abb, v73
	v_mul_f16_e32 v59, 0x3abb, v74
	;; [unrolled: 1-line block ×4, first 2 shown]
	v_add_f16_e32 v44, v57, v44
	v_add_f16_e32 v67, v68, v67
	;; [unrolled: 1-line block ×3, first 2 shown]
	v_sub_f16_e32 v50, v64, v58
	v_add_f16_e32 v38, v43, v38
	v_add_f16_e32 v43, v52, v83
	;; [unrolled: 1-line block ×3, first 2 shown]
	v_sub_f16_e32 v40, v54, v48
	v_add_f16_e32 v47, v78, v47
	v_mul_f16_e32 v78, 0x3abb, v81
	v_pk_add_f16 v3, v10, v3
	v_add_f16_e32 v55, v63, v55
	v_mul_f16_e32 v63, 0xbbad, v79
	v_bfi_b32 v9, 0xffff, v46, v45
	v_add_f16_e32 v11, v12, v11
	v_sub_f16_e32 v12, v75, v41
	v_pk_add_f16 v2, v14, v2
	v_mul_f16_e32 v57, 0xb93d, v79
	v_mul_f16_e32 v91, 0xb93d, v81
	;; [unrolled: 1-line block ×5, first 2 shown]
	v_add_f16_e32 v44, v67, v44
	v_add_f16_e32 v67, v72, v74
	;; [unrolled: 1-line block ×3, first 2 shown]
	v_sub_f16_e32 v50, v73, v69
	v_add_f16_e32 v38, v43, v38
	v_add_f16_e32 v43, v65, v59
	;; [unrolled: 1-line block ×3, first 2 shown]
	v_sub_f16_e32 v35, v53, v51
	v_add_f16_e32 v10, v62, v78
	v_pk_add_f16 v0, v0, v3
	v_bfi_b32 v14, 0xffff, v61, v60
	v_add_f16_e32 v11, v12, v11
	v_pk_add_f16 v2, v9, v2
	v_sub_f16_e32 v3, v63, v56
	v_add_f16_e32 v44, v67, v44
	v_add_f16_e32 v52, v82, v81
	;; [unrolled: 1-line block ×3, first 2 shown]
	v_sub_f16_e32 v50, v79, v80
	v_add_f16_e32 v38, v43, v38
	v_add_f16_e32 v43, v76, v91
	;; [unrolled: 1-line block ×3, first 2 shown]
	v_sub_f16_e32 v33, v57, v70
	v_sub_f16_e32 v68, v68, v84
	v_add_f16_e32 v9, v10, v13
	v_and_b32_e32 v10, 0xffff, v26
	v_pk_add_f16 v0, v1, v0
	v_pk_add_f16 v1, v14, v2
	v_add_f16_e32 v2, v3, v11
	v_add_f16_e32 v44, v52, v44
	;; [unrolled: 1-line block ×6, first 2 shown]
	v_lshlrev_b32_e32 v10, 2, v10
	v_pk_add_f16 v0, v15, v0
	v_alignbit_b32 v9, v9, v1, 16
	v_pack_b32_f16 v1, v2, v1
	v_pack_b32_f16 v2, v42, v44
	;; [unrolled: 1-line block ×4, first 2 shown]
	v_perm_b32 v12, v32, v7, 0x5040100
	v_perm_b32 v13, v30, v5, 0x5040100
	;; [unrolled: 1-line block ×5, first 2 shown]
	ds_store_b32 v10, v0
	ds_store_2addr_b32 v10, v1, v9 offset0:1 offset1:2
	ds_store_2addr_b32 v10, v3, v2 offset0:3 offset1:4
	;; [unrolled: 1-line block ×5, first 2 shown]
.LBB0_7:
	s_wait_alu 0xfffe
	s_or_b32 exec_lo, exec_lo, s0
	v_and_b32_e32 v0, 0xff, v24
	v_add_co_u32 v19, null, 0x63, v24
	s_load_b128 s[0:3], s[2:3], 0x0
	global_wb scope:SCOPE_SE
	s_wait_dscnt 0x0
	v_mul_lo_u16 v1, 0x75, v0
	v_and_b32_e32 v2, 0xff, v19
	s_wait_kmcnt 0x0
	s_barrier_signal -1
	s_barrier_wait -1
	global_inv scope:SCOPE_SE
	v_lshrrev_b16 v1, 8, v1
	v_mul_lo_u16 v2, 0x75, v2
	s_delay_alu instid0(VALU_DEP_2) | instskip(NEXT) | instid1(VALU_DEP_2)
	v_sub_nc_u16 v3, v24, v1
	v_lshrrev_b16 v2, 8, v2
	s_delay_alu instid0(VALU_DEP_2) | instskip(NEXT) | instid1(VALU_DEP_2)
	v_lshrrev_b16 v3, 1, v3
	v_sub_nc_u16 v9, v19, v2
	s_delay_alu instid0(VALU_DEP_2) | instskip(NEXT) | instid1(VALU_DEP_2)
	v_and_b32_e32 v3, 0x7f, v3
	v_lshrrev_b16 v9, 1, v9
	s_delay_alu instid0(VALU_DEP_2) | instskip(NEXT) | instid1(VALU_DEP_2)
	v_add_nc_u16 v1, v3, v1
	v_and_b32_e32 v3, 0x7f, v9
	s_delay_alu instid0(VALU_DEP_2) | instskip(NEXT) | instid1(VALU_DEP_2)
	v_lshrrev_b16 v15, 3, v1
	v_add_nc_u16 v1, v3, v2
	s_delay_alu instid0(VALU_DEP_2) | instskip(NEXT) | instid1(VALU_DEP_2)
	v_mul_lo_u16 v2, v15, 11
	v_lshrrev_b16 v16, 3, v1
	v_and_b32_e32 v33, 0xffff, v15
	s_delay_alu instid0(VALU_DEP_3) | instskip(NEXT) | instid1(VALU_DEP_3)
	v_sub_nc_u16 v1, v24, v2
	v_mul_lo_u16 v2, v16, 11
	v_and_b32_e32 v34, 0xffff, v16
	s_delay_alu instid0(VALU_DEP_4) | instskip(NEXT) | instid1(VALU_DEP_4)
	v_mul_u32_u24_e32 v33, 33, v33
	v_and_b32_e32 v17, 0xff, v1
	s_delay_alu instid0(VALU_DEP_4) | instskip(NEXT) | instid1(VALU_DEP_4)
	v_sub_nc_u16 v1, v19, v2
	v_mul_u32_u24_e32 v37, 33, v34
	v_lshlrev_b32_e32 v19, 3, v19
	s_delay_alu instid0(VALU_DEP_4) | instskip(NEXT) | instid1(VALU_DEP_4)
	v_lshlrev_b32_e32 v2, 3, v17
	v_and_b32_e32 v18, 0xff, v1
	v_add_lshl_u32 v34, v33, v17, 2
	global_load_b64 v[9:10], v2, s[4:5]
	v_lshlrev_b32_e32 v1, 3, v18
	v_add_lshl_u32 v33, v37, v18, 2
	global_load_b64 v[11:12], v1, s[4:5]
	v_and_b32_e32 v1, 0xffff, v24
	v_mul_lo_u16 v2, 0xf9, v0
	s_delay_alu instid0(VALU_DEP_2) | instskip(NEXT) | instid1(VALU_DEP_2)
	v_lshlrev_b32_e32 v25, 2, v1
	v_lshrrev_b16 v20, 13, v2
	s_delay_alu instid0(VALU_DEP_2)
	v_add_nc_u32_e32 v56, 0x200, v25
	v_add_nc_u32_e32 v57, 0x400, v25
	ds_load_2addr_b32 v[0:1], v25 offset1:99
	ds_load_2addr_b32 v[2:3], v56 offset0:70 offset1:169
	ds_load_2addr_b32 v[13:14], v57 offset0:140 offset1:239
	v_mul_lo_u16 v21, v20, 33
	global_wb scope:SCOPE_SE
	s_wait_loadcnt_dscnt 0x0
	s_barrier_signal -1
	s_barrier_wait -1
	global_inv scope:SCOPE_SE
	v_sub_nc_u16 v21, v24, v21
	v_and_b32_e32 v20, 0xffff, v20
	s_delay_alu instid0(VALU_DEP_2) | instskip(NEXT) | instid1(VALU_DEP_2)
	v_and_b32_e32 v21, 0xff, v21
	v_mul_u32_u24_e32 v20, 0xc6, v20
	s_delay_alu instid0(VALU_DEP_2)
	v_mad_co_u64_u32 v[15:16], null, v21, 20, s[4:5]
	v_lshrrev_b32_e32 v22, 16, v0
	v_lshrrev_b32_e32 v36, 16, v2
	;; [unrolled: 1-line block ×8, first 2 shown]
	s_delay_alu instid0(VALU_DEP_2) | instskip(SKIP_1) | instid1(VALU_DEP_3)
	v_mul_f16_e32 v17, v36, v37
	v_mul_f16_e32 v18, v2, v37
	;; [unrolled: 1-line block ×3, first 2 shown]
	v_lshrrev_b32_e32 v40, 16, v11
	v_lshrrev_b32_e32 v39, 16, v12
	v_mul_f16_e32 v45, v13, v38
	v_fma_f16 v2, v2, v9, -v17
	v_fmac_f16_e32 v18, v36, v9
	v_fma_f16 v13, v13, v10, -v44
	v_mul_f16_e32 v17, v42, v40
	v_mul_f16_e32 v36, v3, v40
	;; [unrolled: 1-line block ×4, first 2 shown]
	v_fmac_f16_e32 v45, v41, v10
	v_fma_f16 v3, v3, v11, -v17
	v_fmac_f16_e32 v36, v42, v11
	v_fma_f16 v14, v14, v12, -v44
	v_fmac_f16_e32 v46, v43, v12
	v_add_f16_e32 v17, v0, v2
	v_add_f16_e32 v41, v2, v13
	;; [unrolled: 1-line block ×3, first 2 shown]
	v_sub_f16_e32 v42, v18, v45
	v_add_f16_e32 v18, v18, v45
	v_sub_f16_e32 v2, v2, v13
	v_add_f16_e32 v13, v17, v13
	v_fma_f16 v0, -0.5, v41, v0
	v_add_f16_e32 v17, v43, v45
	v_add_f16_e32 v41, v3, v14
	v_sub_f16_e32 v43, v36, v46
	v_add_f16_e32 v44, v35, v36
	v_add_f16_e32 v36, v36, v46
	v_fmac_f16_e32 v22, -0.5, v18
	v_add_f16_e32 v18, v1, v3
	v_sub_f16_e32 v3, v3, v14
	v_fmac_f16_e32 v1, -0.5, v41
	v_fmac_f16_e32 v35, -0.5, v36
	v_fmamk_f16 v45, v42, 0x3aee, v0
	v_fmac_f16_e32 v0, 0xbaee, v42
	v_fmamk_f16 v42, v2, 0xbaee, v22
	v_fmac_f16_e32 v22, 0x3aee, v2
	v_add_f16_e32 v2, v18, v14
	v_add_f16_e32 v14, v44, v46
	v_pack_b32_f16 v13, v13, v17
	v_fmamk_f16 v17, v43, 0x3aee, v1
	v_fmamk_f16 v18, v3, 0xbaee, v35
	v_fmac_f16_e32 v1, 0xbaee, v43
	v_fmac_f16_e32 v35, 0x3aee, v3
	v_pack_b32_f16 v3, v45, v42
	v_pack_b32_f16 v0, v0, v22
	v_pack_b32_f16 v2, v2, v14
	v_pack_b32_f16 v14, v17, v18
	v_pack_b32_f16 v1, v1, v35
	ds_store_2addr_b32 v34, v13, v3 offset1:11
	ds_store_b32 v34, v0 offset:88
	ds_store_2addr_b32 v33, v2, v14 offset1:11
	ds_store_b32 v33, v1 offset:88
	global_wb scope:SCOPE_SE
	s_wait_dscnt 0x0
	s_barrier_signal -1
	s_barrier_wait -1
	global_inv scope:SCOPE_SE
	s_clause 0x1
	global_load_b128 v[0:3], v[15:16], off offset:88
	global_load_b32 v35, v[15:16], off offset:104
	ds_load_2addr_b32 v[13:14], v25 offset1:99
	ds_load_2addr_b32 v[15:16], v56 offset0:70 offset1:169
	ds_load_2addr_b32 v[17:18], v57 offset0:140 offset1:239
	v_add_lshl_u32 v36, v20, v21, 2
	v_lshlrev_b32_e32 v22, 3, v24
	global_wb scope:SCOPE_SE
	s_wait_loadcnt_dscnt 0x0
	s_barrier_signal -1
	s_barrier_wait -1
	global_inv scope:SCOPE_SE
	v_lshrrev_b32_e32 v21, 16, v14
	v_lshrrev_b32_e32 v41, 16, v15
	;; [unrolled: 1-line block ×11, first 2 shown]
	v_mul_f16_e32 v51, v14, v49
	v_mul_f16_e32 v52, v41, v48
	;; [unrolled: 1-line block ×10, first 2 shown]
	v_fmac_f16_e32 v51, v21, v0
	v_fma_f16 v15, v15, v1, -v52
	v_fmac_f16_e32 v53, v41, v1
	v_fma_f16 v16, v16, v2, -v54
	v_fmac_f16_e32 v55, v42, v2
	v_fma_f16 v17, v17, v3, -v58
	v_fmac_f16_e32 v59, v43, v3
	v_fma_f16 v18, v18, v35, -v60
	v_fmac_f16_e32 v61, v44, v35
	v_fma_f16 v14, v14, v0, -v50
	v_add_f16_e32 v41, v15, v17
	v_sub_f16_e32 v42, v53, v59
	v_add_f16_e32 v43, v20, v53
	v_add_f16_e32 v44, v53, v59
	;; [unrolled: 1-line block ×3, first 2 shown]
	v_sub_f16_e32 v53, v55, v61
	v_add_f16_e32 v54, v51, v55
	v_add_f16_e32 v55, v55, v61
	;; [unrolled: 1-line block ×3, first 2 shown]
	v_sub_f16_e32 v15, v15, v17
	v_add_f16_e32 v50, v14, v16
	v_sub_f16_e32 v16, v16, v18
	v_fmac_f16_e32 v13, -0.5, v41
	v_fmac_f16_e32 v20, -0.5, v44
	;; [unrolled: 1-line block ×4, first 2 shown]
	v_add_f16_e32 v17, v21, v17
	v_add_f16_e32 v21, v43, v59
	;; [unrolled: 1-line block ×3, first 2 shown]
	v_fmamk_f16 v43, v42, 0x3aee, v13
	v_fmac_f16_e32 v13, 0xbaee, v42
	v_fmamk_f16 v42, v15, 0xbaee, v20
	v_fmac_f16_e32 v20, 0x3aee, v15
	v_fmamk_f16 v15, v53, 0x3aee, v14
	v_fmamk_f16 v44, v16, 0xbaee, v51
	v_fmac_f16_e32 v14, 0xbaee, v53
	v_fmac_f16_e32 v51, 0x3aee, v16
	v_add_f16_e32 v16, v17, v18
	v_sub_f16_e32 v17, v17, v18
	v_mul_f16_e32 v18, 0x3aee, v44
	v_mul_f16_e32 v53, 0xbaee, v15
	v_add_f16_e32 v41, v54, v61
	v_mul_f16_e32 v52, -0.5, v14
	v_mul_f16_e32 v54, -0.5, v51
	v_fmac_f16_e32 v18, 0.5, v15
	v_fmac_f16_e32 v53, 0.5, v44
	v_add_f16_e32 v50, v21, v41
	v_fmac_f16_e32 v52, 0x3aee, v51
	v_fmac_f16_e32 v54, 0xbaee, v14
	v_sub_f16_e32 v21, v21, v41
	v_add_f16_e32 v15, v43, v18
	v_add_f16_e32 v41, v42, v53
	v_pack_b32_f16 v14, v16, v50
	v_add_f16_e32 v16, v13, v52
	v_add_f16_e32 v44, v20, v54
	v_sub_f16_e32 v18, v43, v18
	v_sub_f16_e32 v13, v13, v52
	;; [unrolled: 1-line block ×4, first 2 shown]
	v_pack_b32_f16 v15, v15, v41
	v_pack_b32_f16 v17, v17, v21
	;; [unrolled: 1-line block ×5, first 2 shown]
	ds_store_2addr_b32 v36, v14, v15 offset1:33
	ds_store_2addr_b32 v36, v16, v17 offset0:66 offset1:99
	ds_store_2addr_b32 v36, v18, v13 offset0:132 offset1:165
	global_wb scope:SCOPE_SE
	s_wait_dscnt 0x0
	s_barrier_signal -1
	s_barrier_wait -1
	global_inv scope:SCOPE_SE
	s_clause 0x1
	global_load_b64 v[15:16], v22, s[4:5] offset:748
	global_load_b64 v[13:14], v19, s[4:5] offset:748
	ds_load_2addr_b32 v[19:20], v25 offset1:99
	ds_load_2addr_b32 v[17:18], v56 offset0:70 offset1:169
	ds_load_2addr_b32 v[21:22], v57 offset0:140 offset1:239
	s_wait_dscnt 0x2
	v_lshrrev_b32_e32 v51, 16, v20
	s_wait_dscnt 0x1
	v_lshrrev_b32_e32 v50, 16, v17
	s_wait_dscnt 0x0
	v_lshrrev_b32_e32 v53, 16, v21
	v_lshrrev_b32_e32 v54, 16, v18
	v_lshrrev_b32_e32 v55, 16, v22
	;; [unrolled: 1-line block ×3, first 2 shown]
	s_wait_loadcnt 0x1
	v_lshrrev_b32_e32 v44, 16, v15
	v_lshrrev_b32_e32 v43, 16, v16
	s_wait_loadcnt 0x0
	v_lshrrev_b32_e32 v42, 16, v13
	v_lshrrev_b32_e32 v41, 16, v14
	v_mul_f16_e32 v58, v50, v44
	v_mul_f16_e32 v59, v17, v44
	;; [unrolled: 1-line block ×8, first 2 shown]
	v_fma_f16 v17, v17, v15, -v58
	v_fmac_f16_e32 v59, v50, v15
	v_fma_f16 v21, v21, v16, -v60
	v_fmac_f16_e32 v61, v53, v16
	;; [unrolled: 2-line block ×4, first 2 shown]
	v_add_f16_e32 v50, v19, v17
	v_add_f16_e32 v53, v17, v21
	;; [unrolled: 1-line block ×4, first 2 shown]
	v_sub_f16_e32 v64, v63, v65
	v_add_f16_e32 v66, v51, v63
	v_add_f16_e32 v63, v63, v65
	v_add_f16_e32 v55, v52, v59
	v_add_f16_e32 v60, v20, v18
	v_sub_f16_e32 v54, v59, v61
	v_sub_f16_e32 v59, v17, v21
	;; [unrolled: 1-line block ×3, first 2 shown]
	v_add_f16_e32 v17, v50, v21
	v_fma_f16 v21, -0.5, v53, v19
	v_fmac_f16_e32 v52, -0.5, v58
	v_fmac_f16_e32 v20, -0.5, v62
	v_fmac_f16_e32 v51, -0.5, v63
	v_add_f16_e32 v50, v55, v61
	v_add_f16_e32 v22, v60, v22
	;; [unrolled: 1-line block ×3, first 2 shown]
	v_fmamk_f16 v18, v54, 0x3aee, v21
	v_fmac_f16_e32 v21, 0xbaee, v54
	v_fmamk_f16 v55, v59, 0xbaee, v52
	v_fmamk_f16 v19, v64, 0x3aee, v20
	;; [unrolled: 1-line block ×3, first 2 shown]
	v_fmac_f16_e32 v52, 0x3aee, v59
	v_fmac_f16_e32 v20, 0xbaee, v64
	;; [unrolled: 1-line block ×3, first 2 shown]
	v_pack_b32_f16 v58, v17, v50
	v_pack_b32_f16 v59, v22, v53
	;; [unrolled: 1-line block ×6, first 2 shown]
	ds_store_2addr_b32 v25, v58, v59 offset1:99
	ds_store_2addr_b32 v56, v60, v62 offset0:70 offset1:169
	ds_store_2addr_b32 v57, v61, v63 offset0:140 offset1:239
	global_wb scope:SCOPE_SE
	s_wait_dscnt 0x0
	s_barrier_signal -1
	s_barrier_wait -1
	global_inv scope:SCOPE_SE
	s_and_saveexec_b32 s4, vcc_lo
	s_cbranch_execz .LBB0_9
; %bb.8:
	global_load_b32 v56, v23, s[12:13] offset:2376
	s_add_nc_u64 s[6:7], s[12:13], 0x948
	s_clause 0x9
	global_load_b32 v66, v23, s[6:7] offset:216
	global_load_b32 v67, v23, s[6:7] offset:432
	global_load_b32 v68, v23, s[6:7] offset:648
	global_load_b32 v69, v23, s[6:7] offset:864
	global_load_b32 v70, v23, s[6:7] offset:1080
	global_load_b32 v71, v23, s[6:7] offset:1296
	global_load_b32 v72, v23, s[6:7] offset:1512
	global_load_b32 v73, v23, s[6:7] offset:1728
	global_load_b32 v74, v23, s[6:7] offset:1944
	global_load_b32 v75, v23, s[6:7] offset:2160
	ds_load_b32 v57, v25
	v_add_nc_u32_e32 v76, 0x400, v23
	v_add_nc_u32_e32 v77, 0x600, v23
	s_wait_dscnt 0x0
	v_lshrrev_b32_e32 v58, 16, v57
	s_wait_loadcnt 0x9
	v_lshrrev_b32_e32 v78, 16, v66
	s_wait_loadcnt 0x8
	;; [unrolled: 2-line block ×6, first 2 shown]
	v_lshrrev_b32_e32 v83, 16, v71
	v_lshrrev_b32_e32 v59, 16, v56
	s_wait_loadcnt 0x3
	v_lshrrev_b32_e32 v84, 16, v72
	s_wait_loadcnt 0x2
	;; [unrolled: 2-line block ×4, first 2 shown]
	v_lshrrev_b32_e32 v87, 16, v75
	v_mul_f16_e32 v60, v58, v59
	v_mul_f16_e32 v59, v57, v59
	s_delay_alu instid0(VALU_DEP_2) | instskip(NEXT) | instid1(VALU_DEP_2)
	v_fma_f16 v57, v57, v56, -v60
	v_fmac_f16_e32 v59, v58, v56
	s_delay_alu instid0(VALU_DEP_1)
	v_pack_b32_f16 v56, v57, v59
	ds_store_b32 v25, v56
	ds_load_2addr_b32 v[56:57], v23 offset0:54 offset1:108
	ds_load_2addr_b32 v[58:59], v23 offset0:162 offset1:216
	ds_load_2addr_b32 v[60:61], v76 offset0:14 offset1:68
	ds_load_2addr_b32 v[62:63], v76 offset0:122 offset1:176
	ds_load_2addr_b32 v[64:65], v77 offset0:102 offset1:156
	s_wait_dscnt 0x4
	v_lshrrev_b32_e32 v88, 16, v56
	v_lshrrev_b32_e32 v90, 16, v57
	s_wait_dscnt 0x3
	v_lshrrev_b32_e32 v92, 16, v58
	v_lshrrev_b32_e32 v94, 16, v59
	;; [unrolled: 3-line block ×5, first 2 shown]
	v_mul_f16_e32 v89, v56, v78
	v_mul_f16_e32 v91, v57, v79
	;; [unrolled: 1-line block ×20, first 2 shown]
	v_fmac_f16_e32 v89, v88, v66
	v_fmac_f16_e32 v91, v90, v67
	v_fma_f16 v56, v56, v66, -v78
	v_fma_f16 v57, v57, v67, -v79
	v_fmac_f16_e32 v93, v92, v68
	v_fmac_f16_e32 v95, v94, v69
	v_fma_f16 v58, v58, v68, -v80
	v_fma_f16 v59, v59, v69, -v81
	;; [unrolled: 4-line block ×5, first 2 shown]
	v_pack_b32_f16 v56, v56, v89
	v_pack_b32_f16 v57, v57, v91
	;; [unrolled: 1-line block ×10, first 2 shown]
	ds_store_2addr_b32 v23, v56, v57 offset0:54 offset1:108
	ds_store_2addr_b32 v23, v58, v59 offset0:162 offset1:216
	;; [unrolled: 1-line block ×5, first 2 shown]
.LBB0_9:
	s_wait_alu 0xfffe
	s_or_b32 exec_lo, exec_lo, s4
	global_wb scope:SCOPE_SE
	s_wait_dscnt 0x0
	s_barrier_signal -1
	s_barrier_wait -1
	global_inv scope:SCOPE_SE
	s_and_saveexec_b32 s4, vcc_lo
	s_cbranch_execz .LBB0_11
; %bb.10:
	v_add_nc_u32_e32 v5, 0x200, v25
	v_add_nc_u32_e32 v6, 0x400, v25
	ds_load_2addr_b32 v[17:18], v25 offset1:54
	ds_load_2addr_b32 v[21:22], v25 offset0:108 offset1:162
	ds_load_2addr_b32 v[19:20], v5 offset0:88 offset1:142
	;; [unrolled: 1-line block ×4, first 2 shown]
	ds_load_b32 v27, v25 offset:2160
	s_wait_dscnt 0x4
	v_lshrrev_b32_e32 v52, 16, v21
	v_lshrrev_b32_e32 v53, 16, v22
	;; [unrolled: 1-line block ×4, first 2 shown]
	s_wait_dscnt 0x3
	v_lshrrev_b32_e32 v54, 16, v19
	v_lshrrev_b32_e32 v51, 16, v20
	s_wait_dscnt 0x2
	v_lshrrev_b32_e32 v32, 16, v7
	v_lshrrev_b32_e32 v31, 16, v8
	;; [unrolled: 3-line block ×3, first 2 shown]
	s_wait_dscnt 0x0
	v_lshrrev_b32_e32 v28, 16, v27
.LBB0_11:
	s_wait_alu 0xfffe
	s_or_b32 exec_lo, exec_lo, s4
	global_wb scope:SCOPE_SE
	s_barrier_signal -1
	s_barrier_wait -1
	global_inv scope:SCOPE_SE
	s_and_saveexec_b32 s4, vcc_lo
	s_cbranch_execz .LBB0_13
; %bb.12:
	v_add_f16_e32 v56, v28, v55
	v_sub_f16_e32 v57, v18, v27
	v_add_f16_e32 v58, v29, v52
	v_sub_f16_e32 v59, v21, v6
	v_add_f16_e32 v60, v30, v53
	v_mul_f16_e32 v61, 0xbbad, v56
	v_sub_f16_e32 v62, v22, v5
	v_mul_f16_e32 v65, 0x3abb, v58
	v_sub_f16_e32 v68, v55, v28
	v_mul_f16_e32 v69, 0xb93d, v60
	v_fmamk_f16 v66, v57, 0x3482, v61
	v_add_f16_e32 v67, v27, v18
	v_fmamk_f16 v70, v59, 0xb853, v65
	v_sub_f16_e32 v71, v52, v29
	v_mul_f16_e32 v73, 0xb482, v68
	v_add_f16_e32 v66, v50, v66
	v_fmamk_f16 v74, v62, 0x3a0c, v69
	v_add_f16_e32 v80, v5, v22
	v_mul_f16_e32 v75, 0x3853, v71
	v_fmamk_f16 v76, v67, 0xbbad, v73
	v_add_f16_e32 v66, v70, v66
	v_add_f16_e32 v70, v6, v21
	v_sub_f16_e32 v83, v54, v31
	v_add_f16_e32 v63, v31, v54
	v_add_f16_e32 v76, v17, v76
	;; [unrolled: 1-line block ×3, first 2 shown]
	v_sub_f16_e32 v74, v53, v30
	v_fmamk_f16 v79, v70, 0x3abb, v75
	v_add_f16_e32 v85, v8, v19
	v_mul_f16_e32 v86, 0x3b47, v83
	v_sub_f16_e32 v64, v19, v8
	v_mul_f16_e32 v81, 0xba0c, v74
	v_add_f16_e32 v76, v79, v76
	v_mul_f16_e32 v72, 0x36a6, v63
	v_add_f16_e32 v78, v32, v51
	v_mul_f16_e32 v87, 0xb93d, v56
	v_fmamk_f16 v79, v80, 0xb93d, v81
	v_sub_f16_e32 v84, v20, v7
	v_fmamk_f16 v77, v64, 0xbb47, v72
	v_mul_f16_e32 v82, 0xb08e, v78
	v_mul_f16_e32 v88, 0xb08e, v58
	v_add_f16_e32 v76, v79, v76
	v_fmamk_f16 v79, v85, 0x36a6, v86
	v_add_f16_e32 v66, v77, v66
	v_fmamk_f16 v77, v84, 0x3beb, v82
	v_fmamk_f16 v92, v59, 0xbbeb, v88
	v_mul_f16_e32 v93, 0x3abb, v60
	v_add_f16_e32 v76, v79, v76
	v_fmamk_f16 v79, v57, 0x3a0c, v87
	v_mul_f16_e32 v103, 0xbbeb, v68
	v_add_f16_e32 v66, v77, v66
	v_sub_f16_e32 v77, v51, v32
	v_mul_f16_e32 v97, 0xbbad, v63
	v_add_f16_e32 v79, v50, v79
	v_fmamk_f16 v107, v67, 0xb08e, v103
	v_mul_f16_e32 v108, 0x3482, v71
	v_add_f16_e32 v89, v7, v20
	v_mul_f16_e32 v90, 0xbbeb, v77
	v_add_f16_e32 v79, v92, v79
	v_fmamk_f16 v92, v62, 0x3853, v93
	v_mul_f16_e32 v100, 0x36a6, v78
	v_add_f16_e32 v107, v17, v107
	v_fmamk_f16 v110, v70, 0xbbad, v108
	;; [unrolled: 3-line block ×3, first 2 shown]
	v_fmamk_f16 v94, v89, 0xb08e, v90
	v_mul_f16_e32 v102, 0xb08e, v56
	v_add_f16_e32 v107, v110, v107
	v_fmamk_f16 v110, v80, 0x36a6, v111
	v_add_f16_e32 v79, v92, v79
	v_fmamk_f16 v92, v84, 0xbb47, v100
	v_mul_f16_e32 v113, 0xb853, v83
	v_add_f16_e32 v76, v94, v76
	v_mul_f16_e32 v94, 0xbbad, v58
	v_add_f16_e32 v107, v110, v107
	v_add_f16_e32 v79, v92, v79
	v_fmamk_f16 v92, v57, 0x3beb, v102
	v_fmamk_f16 v110, v85, 0x3abb, v113
	;; [unrolled: 1-line block ×3, first 2 shown]
	v_mul_f16_e32 v105, 0x36a6, v60
	v_add_f16_e32 v18, v18, v17
	v_add_f16_e32 v92, v50, v92
	;; [unrolled: 1-line block ×3, first 2 shown]
	v_mul_f16_e32 v110, 0xbb47, v68
	v_mul_f16_e32 v109, 0x3abb, v63
	;; [unrolled: 1-line block ×3, first 2 shown]
	v_add_f16_e32 v92, v104, v92
	v_fmamk_f16 v104, v62, 0xbb47, v105
	v_fmamk_f16 v118, v67, 0x36a6, v110
	v_add_f16_e32 v55, v55, v50
	v_add_f16_e32 v18, v21, v18
	v_mul_f16_e32 v91, 0xba0c, v68
	v_add_f16_e32 v92, v104, v92
	v_fmamk_f16 v104, v64, 0x3853, v109
	v_add_f16_e32 v118, v17, v118
	v_fmamk_f16 v121, v70, 0xb93d, v119
	v_mul_f16_e32 v122, 0x3482, v74
	v_mul_f16_e32 v68, 0xb853, v68
	v_add_f16_e32 v21, v52, v55
	v_add_f16_e32 v18, v22, v18
	;; [unrolled: 1-line block ×3, first 2 shown]
	v_mul_f16_e32 v104, 0x36a6, v56
	v_add_f16_e32 v118, v121, v118
	v_fmamk_f16 v121, v80, 0xbbad, v122
	v_mul_f16_e32 v124, 0x3beb, v83
	v_mul_f16_e32 v56, 0x3abb, v56
	v_fmamk_f16 v52, v67, 0x3abb, v68
	v_mul_f16_e32 v55, 0xbb47, v71
	v_add_f16_e32 v21, v53, v21
	v_add_f16_e32 v18, v19, v18
	v_mul_f16_e32 v115, 0xb93d, v58
	v_mul_f16_e32 v117, 0xba0c, v77
	v_add_f16_e32 v118, v121, v118
	v_fmamk_f16 v121, v85, 0xb08e, v124
	v_mul_f16_e32 v125, 0x3853, v77
	v_fmamk_f16 v126, v57, 0x3853, v56
	v_mul_f16_e32 v58, 0x36a6, v58
	v_add_f16_e32 v22, v17, v52
	v_fmamk_f16 v52, v70, 0x36a6, v55
	v_mul_f16_e32 v53, 0xbbeb, v74
	v_add_f16_e32 v19, v54, v21
	v_add_f16_e32 v18, v20, v18
	v_mul_f16_e32 v116, 0xbbad, v60
	v_fmamk_f16 v123, v89, 0xb93d, v117
	v_add_f16_e32 v118, v121, v118
	v_fmamk_f16 v121, v89, 0x3abb, v125
	v_add_f16_e32 v126, v50, v126
	v_fma_f16 v128, 0x3b47, v59, v58
	v_mul_f16_e32 v60, 0xb08e, v60
	v_add_f16_e32 v22, v52, v22
	v_fmamk_f16 v52, v80, 0xb08e, v53
	v_add_f16_e32 v19, v51, v19
	v_mul_f16_e32 v51, 0xba0c, v83
	v_add_f16_e32 v7, v7, v18
	v_mul_f16_e32 v120, 0xb08e, v63
	v_add_f16_e32 v107, v123, v107
	v_add_f16_e32 v118, v121, v118
	v_add_f16_e64 v121, v128, v126
	v_fmamk_f16 v123, v62, 0x3beb, v60
	v_mul_f16_e32 v63, 0xb93d, v63
	v_add_f16_e32 v22, v52, v22
	v_add_f16_e32 v18, v32, v19
	v_fmamk_f16 v19, v85, 0xb93d, v51
	v_mul_f16_e32 v32, 0xb482, v77
	v_add_f16_e32 v7, v8, v7
	v_add_f16_e32 v121, v123, v121
	v_fmamk_f16 v123, v64, 0x3a0c, v63
	v_mul_f16_e32 v21, 0xbbad, v78
	v_fmac_f16_e32 v61, 0xb482, v57
	v_add_f16_e32 v19, v19, v22
	v_fmamk_f16 v22, v89, 0xbbad, v32
	v_add_f16_e32 v5, v5, v7
	v_mul_f16_e32 v96, 0x3beb, v71
	v_add_f16_e32 v71, v123, v121
	v_fmamk_f16 v20, v84, 0x3482, v21
	v_add_f16_e32 v8, v31, v18
	v_add_f16_e32 v18, v50, v61
	v_fmac_f16_e32 v65, 0x3853, v59
	v_add_f16_e32 v5, v6, v5
	v_add_f16_e32 v6, v22, v19
	v_fma_f16 v19, v67, 0xbbad, -v73
	v_fmamk_f16 v95, v67, 0xb93d, v91
	v_add_f16_e32 v7, v30, v8
	v_add_f16_e32 v8, v65, v18
	;; [unrolled: 1-line block ×4, first 2 shown]
	v_fma_f16 v20, v70, 0x3abb, -v75
	v_add_f16_e32 v95, v17, v95
	v_fmamk_f16 v98, v70, 0xb08e, v96
	v_mul_f16_e32 v99, 0xb853, v74
	v_mul_f16_e32 v101, 0xb482, v83
	v_add_f16_e32 v19, v20, v19
	v_fma_f16 v20, v80, 0xb93d, -v81
	v_add_f16_e32 v95, v98, v95
	v_fmamk_f16 v98, v80, 0x3abb, v99
	v_mul_f16_e32 v112, 0xb93d, v78
	v_add_f16_e32 v7, v29, v7
	v_add_f16_e32 v19, v20, v19
	v_fma_f16 v20, v85, 0x36a6, -v86
	v_add_f16_e32 v95, v98, v95
	v_fmamk_f16 v98, v85, 0xbbad, v101
	v_add_f16_e32 v5, v27, v5
	v_fma_f16 v27, v67, 0xb93d, -v91
	v_add_f16_e32 v19, v20, v19
	v_fma_f16 v20, v89, 0xb08e, -v90
	v_add_f16_e32 v95, v98, v95
	v_mul_f16_e32 v98, 0x3b47, v77
	v_fma_f16 v29, v70, 0xbbad, -v108
	v_fmamk_f16 v114, v84, 0x3a0c, v112
	v_add_f16_e32 v19, v20, v19
	v_fma_f16 v20, v67, 0xb08e, -v103
	v_fmamk_f16 v106, v89, 0x36a6, v98
	v_add_f16_e32 v7, v28, v7
	v_add_f16_e32 v27, v17, v27
	v_fma_f16 v28, v70, 0xb08e, -v96
	v_add_f16_e32 v20, v17, v20
	v_add_f16_e32 v95, v106, v95
	v_fmamk_f16 v106, v57, 0x3b47, v104
	v_fmac_f16_e32 v104, 0xbb47, v57
	v_add_f16_e32 v92, v114, v92
	v_add_f16_e32 v20, v29, v20
	v_fma_f16 v29, v80, 0x36a6, -v111
	v_add_f16_e32 v106, v50, v106
	v_fmamk_f16 v114, v59, 0x3a0c, v115
	v_add_f16_e32 v27, v28, v27
	v_fma_f16 v28, v80, 0x3abb, -v99
	v_add_f16_e32 v31, v50, v104
	v_fmac_f16_e32 v115, 0xba0c, v59
	v_add_f16_e32 v20, v29, v20
	v_fma_f16 v29, v85, 0x3abb, -v113
	v_add_f16_e32 v106, v114, v106
	v_fmamk_f16 v114, v62, 0xb482, v116
	v_add_f16_e32 v27, v28, v27
	v_fma_f16 v28, v85, 0xbbad, -v101
	v_add_f16_e32 v31, v115, v31
	v_fmac_f16_e32 v116, 0x3482, v62
	;; [unrolled: 8-line block ×3, first 2 shown]
	v_fmac_f16_e32 v87, 0xba0c, v57
	v_fmac_f16_e32 v102, 0xbbeb, v57
	v_add_f16_e32 v20, v29, v20
	v_fma_f16 v29, v67, 0x36a6, -v110
	v_add_f16_e32 v27, v30, v27
	v_add_f16_e32 v30, v120, v31
	v_fmac_f16_e32 v56, 0xb853, v57
	v_fma_f16 v31, v67, 0x3abb, -v68
	v_add_f16_e32 v22, v50, v87
	v_fmac_f16_e32 v88, 0x3beb, v59
	v_add_f16_e32 v28, v50, v102
	v_fmac_f16_e32 v94, 0x3482, v59
	v_add_f16_e32 v29, v17, v29
	v_fma_f16 v52, v70, 0xb93d, -v119
	v_add_f16_e32 v50, v50, v56
	v_fmac_f16_e32 v58, 0xbb47, v59
	v_add_f16_e32 v17, v17, v31
	v_fma_f16 v31, v70, 0x36a6, -v55
	v_fmac_f16_e32 v69, 0xba0c, v62
	v_add_f16_e32 v22, v88, v22
	v_fmac_f16_e32 v93, 0xb853, v62
	v_add_f16_e32 v28, v94, v28
	;; [unrolled: 2-line block ×3, first 2 shown]
	v_fma_f16 v52, v80, 0xbbad, -v122
	v_add_f16_e32 v50, v58, v50
	v_fmac_f16_e32 v60, 0xbbeb, v62
	v_add_f16_e32 v17, v31, v17
	v_fma_f16 v31, v80, 0xb08e, -v53
	v_add_f16_e32 v106, v114, v106
	v_mul_f16_e32 v114, 0x3abb, v78
	v_add_f16_e32 v8, v69, v8
	v_fmac_f16_e32 v72, 0x3b47, v64
	v_add_f16_e32 v22, v93, v22
	v_fmac_f16_e32 v97, 0xb482, v64
	;; [unrolled: 2-line block ×3, first 2 shown]
	v_add_f16_e32 v29, v52, v29
	v_fma_f16 v52, v85, 0xb08e, -v124
	v_add_f16_e32 v50, v60, v50
	v_fmac_f16_e32 v63, 0xba0c, v64
	v_add_f16_e32 v17, v31, v17
	v_fma_f16 v31, v85, 0xb93d, -v51
	v_fmamk_f16 v127, v84, 0xb853, v114
	v_add_f16_e32 v8, v72, v8
	v_fmac_f16_e32 v82, 0xbbeb, v84
	v_add_f16_e32 v22, v97, v22
	v_fmac_f16_e32 v100, 0x3b47, v84
	;; [unrolled: 2-line block ×3, first 2 shown]
	v_fmac_f16_e32 v114, 0x3853, v84
	v_add_f16_e32 v29, v52, v29
	v_fma_f16 v51, v89, 0x3abb, -v125
	v_add_f16_e32 v50, v63, v50
	v_fmac_f16_e32 v21, 0xb482, v84
	v_add_f16_e32 v17, v31, v17
	v_fma_f16 v31, v89, 0xbbad, -v32
	v_and_b32_e32 v26, 0xffff, v26
	v_add_f16_e32 v106, v127, v106
	v_add_f16_e32 v8, v82, v8
	;; [unrolled: 1-line block ×8, first 2 shown]
	v_lshlrev_b32_e32 v26, 2, v26
	v_pack_b32_f16 v6, v6, v18
	v_pack_b32_f16 v5, v5, v7
	;; [unrolled: 1-line block ×11, first 2 shown]
	ds_store_2addr_b32 v26, v5, v6 offset1:1
	ds_store_2addr_b32 v26, v18, v7 offset0:2 offset1:3
	ds_store_2addr_b32 v26, v32, v31 offset0:4 offset1:5
	;; [unrolled: 1-line block ×4, first 2 shown]
	ds_store_b32 v26, v17 offset:40
.LBB0_13:
	s_wait_alu 0xfffe
	s_or_b32 exec_lo, exec_lo, s4
	v_add_nc_u32_e32 v19, 0x200, v25
	v_add_nc_u32_e32 v20, 0x400, v25
	global_wb scope:SCOPE_SE
	s_wait_dscnt 0x0
	s_barrier_signal -1
	s_barrier_wait -1
	global_inv scope:SCOPE_SE
	ds_load_2addr_b32 v[5:6], v25 offset1:99
	ds_load_2addr_b32 v[7:8], v19 offset0:70 offset1:169
	ds_load_2addr_b32 v[17:18], v20 offset0:140 offset1:239
	global_wb scope:SCOPE_SE
	s_wait_dscnt 0x0
	s_barrier_signal -1
	s_barrier_wait -1
	global_inv scope:SCOPE_SE
	v_lshrrev_b32_e32 v21, 16, v5
	v_lshrrev_b32_e32 v26, 16, v7
	;; [unrolled: 1-line block ×3, first 2 shown]
	v_mul_f16_e32 v30, v37, v7
	v_lshrrev_b32_e32 v28, 16, v8
	v_lshrrev_b32_e32 v29, 16, v18
	v_mul_f16_e32 v31, v38, v17
	v_mul_f16_e32 v32, v40, v8
	;; [unrolled: 1-line block ×3, first 2 shown]
	v_fma_f16 v26, v9, v26, -v30
	v_mul_f16_e32 v30, v38, v27
	v_mul_f16_e32 v50, v39, v18
	v_fma_f16 v27, v10, v27, -v31
	v_mul_f16_e32 v31, v40, v28
	v_fma_f16 v28, v11, v28, -v32
	v_mul_f16_e32 v32, v39, v29
	v_fmac_f16_e32 v37, v9, v7
	v_fmac_f16_e32 v30, v10, v17
	v_fma_f16 v29, v12, v29, -v50
	v_fmac_f16_e32 v31, v11, v8
	v_fmac_f16_e32 v32, v12, v18
	v_add_f16_e32 v8, v21, v26
	v_add_f16_e32 v9, v26, v27
	v_add_f16_e32 v18, v37, v30
	v_lshrrev_b32_e32 v22, 16, v6
	v_sub_f16_e32 v7, v26, v27
	v_add_f16_e32 v12, v28, v29
	v_add_f16_e32 v17, v5, v37
	;; [unrolled: 1-line block ×3, first 2 shown]
	v_fmac_f16_e32 v21, -0.5, v9
	v_sub_f16_e32 v9, v37, v30
	v_add_f16_e32 v27, v31, v32
	v_fma_f16 v5, -0.5, v18, v5
	v_sub_f16_e32 v10, v28, v29
	v_add_f16_e32 v11, v22, v28
	v_add_f16_e32 v26, v6, v31
	v_fmamk_f16 v18, v9, 0x3aee, v21
	v_fmac_f16_e32 v21, 0xbaee, v9
	v_fmac_f16_e32 v6, -0.5, v27
	v_fmamk_f16 v9, v7, 0xbaee, v5
	v_fmac_f16_e32 v5, 0x3aee, v7
	v_fmac_f16_e32 v22, -0.5, v12
	v_sub_f16_e32 v7, v31, v32
	v_add_f16_e32 v17, v17, v30
	v_add_f16_e32 v12, v26, v32
	v_fmamk_f16 v26, v10, 0xbaee, v6
	v_fmac_f16_e32 v6, 0x3aee, v10
	v_add_f16_e32 v10, v11, v29
	v_fmamk_f16 v11, v7, 0x3aee, v22
	v_fmac_f16_e32 v22, 0xbaee, v7
	v_pack_b32_f16 v7, v17, v8
	v_pack_b32_f16 v8, v9, v18
	;; [unrolled: 1-line block ×6, first 2 shown]
	ds_store_2addr_b32 v34, v7, v8 offset1:11
	ds_store_b32 v34, v5 offset:88
	ds_store_2addr_b32 v33, v9, v10 offset1:11
	ds_store_b32 v33, v6 offset:88
	global_wb scope:SCOPE_SE
	s_wait_dscnt 0x0
	s_barrier_signal -1
	s_barrier_wait -1
	global_inv scope:SCOPE_SE
	ds_load_2addr_b32 v[5:6], v25 offset1:99
	ds_load_2addr_b32 v[7:8], v19 offset0:70 offset1:169
	ds_load_2addr_b32 v[9:10], v20 offset0:140 offset1:239
	global_wb scope:SCOPE_SE
	s_wait_dscnt 0x0
	s_barrier_signal -1
	s_barrier_wait -1
	global_inv scope:SCOPE_SE
	v_lshrrev_b32_e32 v11, 16, v6
	v_lshrrev_b32_e32 v17, 16, v7
	;; [unrolled: 1-line block ×4, first 2 shown]
	v_mul_f16_e32 v26, v49, v6
	v_mul_f16_e32 v22, v49, v11
	;; [unrolled: 1-line block ×4, first 2 shown]
	v_lshrrev_b32_e32 v27, 16, v10
	v_lshrrev_b32_e32 v12, 16, v5
	v_fmac_f16_e32 v22, v0, v6
	v_mul_f16_e32 v6, v47, v18
	v_fmac_f16_e32 v28, v1, v7
	v_mul_f16_e32 v7, v46, v21
	v_fma_f16 v0, v0, v11, -v26
	v_mul_f16_e32 v11, v47, v8
	v_fmac_f16_e32 v6, v2, v8
	v_mul_f16_e32 v8, v46, v9
	v_fmac_f16_e32 v7, v3, v9
	v_fma_f16 v1, v1, v17, -v29
	v_mul_f16_e32 v9, v45, v27
	v_fma_f16 v2, v2, v18, -v11
	v_mul_f16_e32 v11, v45, v10
	v_fma_f16 v3, v3, v21, -v8
	v_add_f16_e32 v8, v28, v7
	v_fmac_f16_e32 v9, v35, v10
	v_add_f16_e32 v10, v5, v28
	v_fma_f16 v11, v35, v27, -v11
	v_add_f16_e32 v17, v1, v3
	v_fmac_f16_e32 v5, -0.5, v8
	v_sub_f16_e32 v8, v1, v3
	v_add_f16_e32 v1, v12, v1
	v_add_f16_e32 v10, v10, v7
	v_fmac_f16_e32 v12, -0.5, v17
	v_sub_f16_e32 v7, v28, v7
	v_fmamk_f16 v17, v8, 0xbaee, v5
	v_fmac_f16_e32 v5, 0x3aee, v8
	v_add_f16_e32 v8, v2, v11
	v_add_f16_e32 v18, v6, v9
	;; [unrolled: 1-line block ×4, first 2 shown]
	v_fmamk_f16 v3, v7, 0x3aee, v12
	v_fmac_f16_e32 v0, -0.5, v8
	v_sub_f16_e32 v8, v6, v9
	v_add_f16_e32 v6, v22, v6
	v_fmac_f16_e32 v22, -0.5, v18
	v_sub_f16_e32 v2, v2, v11
	v_fmac_f16_e32 v12, 0xbaee, v7
	v_fmamk_f16 v7, v8, 0x3aee, v0
	v_fmac_f16_e32 v0, 0xbaee, v8
	v_add_f16_e32 v6, v6, v9
	v_fmamk_f16 v8, v2, 0xbaee, v22
	v_fmac_f16_e32 v22, 0x3aee, v2
	v_mul_f16_e32 v2, 0xbaee, v7
	v_mul_f16_e32 v7, 0.5, v7
	v_mul_f16_e32 v9, 0xbaee, v0
	v_mul_f16_e32 v0, -0.5, v0
	v_add_f16_e32 v11, v21, v11
	v_fmac_f16_e32 v2, 0.5, v8
	v_fmac_f16_e32 v7, 0x3aee, v8
	v_fmac_f16_e32 v9, -0.5, v22
	v_fmac_f16_e32 v0, 0x3aee, v22
	v_add_f16_e32 v18, v10, v6
	v_add_f16_e32 v8, v17, v2
	;; [unrolled: 1-line block ×6, first 2 shown]
	v_sub_f16_e32 v6, v10, v6
	v_sub_f16_e32 v1, v1, v11
	;; [unrolled: 1-line block ×6, first 2 shown]
	v_pack_b32_f16 v7, v18, v22
	v_pack_b32_f16 v8, v8, v26
	;; [unrolled: 1-line block ×6, first 2 shown]
	ds_store_2addr_b32 v36, v7, v8 offset1:33
	ds_store_2addr_b32 v36, v9, v1 offset0:66 offset1:99
	ds_store_2addr_b32 v36, v2, v0 offset0:132 offset1:165
	global_wb scope:SCOPE_SE
	s_wait_dscnt 0x0
	s_barrier_signal -1
	s_barrier_wait -1
	global_inv scope:SCOPE_SE
	ds_load_2addr_b32 v[0:1], v19 offset0:70 offset1:169
	ds_load_2addr_b32 v[2:3], v25 offset1:99
	ds_load_2addr_b32 v[5:6], v20 offset0:140 offset1:239
	s_wait_dscnt 0x2
	v_lshrrev_b32_e32 v7, 16, v0
	v_lshrrev_b32_e32 v12, 16, v1
	s_wait_dscnt 0x0
	v_lshrrev_b32_e32 v9, 16, v5
	v_mul_f16_e32 v17, v44, v0
	v_lshrrev_b32_e32 v18, 16, v6
	v_mul_f16_e32 v11, v44, v7
	;; [unrolled: 2-line block ×3, first 2 shown]
	v_fma_f16 v7, v15, v7, -v17
	v_lshrrev_b32_e32 v10, 16, v3
	v_fmac_f16_e32 v11, v15, v0
	v_mul_f16_e32 v0, v43, v5
	v_fmac_f16_e32 v21, v16, v5
	v_mul_f16_e32 v5, v42, v1
	v_mul_f16_e32 v15, v42, v12
	s_delay_alu instid0(VALU_DEP_4) | instskip(SKIP_1) | instid1(VALU_DEP_4)
	v_fma_f16 v0, v16, v9, -v0
	v_mul_f16_e32 v9, v41, v18
	v_fma_f16 v5, v13, v12, -v5
	v_add_f16_e32 v12, v11, v21
	v_fmac_f16_e32 v15, v13, v1
	v_mul_f16_e32 v1, v41, v6
	v_add_f16_e32 v13, v7, v0
	v_fmac_f16_e32 v9, v14, v6
	v_add_f16_e32 v6, v2, v11
	v_fma_f16 v2, -0.5, v12, v2
	v_sub_f16_e32 v12, v7, v0
	v_add_f16_e32 v7, v8, v7
	v_fma_f16 v1, v14, v18, -v1
	v_fmac_f16_e32 v8, -0.5, v13
	v_sub_f16_e32 v11, v11, v21
	v_fmamk_f16 v13, v12, 0xbaee, v2
	v_add_f16_e32 v0, v7, v0
	v_add_f16_e32 v7, v15, v9
	v_fmac_f16_e32 v2, 0x3aee, v12
	v_fmamk_f16 v12, v11, 0x3aee, v8
	v_fmac_f16_e32 v8, 0xbaee, v11
	v_add_f16_e32 v11, v5, v1
	v_add_f16_e32 v14, v3, v15
	v_fmac_f16_e32 v3, -0.5, v7
	v_sub_f16_e32 v7, v5, v1
	v_add_f16_e32 v5, v10, v5
	v_fmac_f16_e32 v10, -0.5, v11
	v_sub_f16_e32 v11, v15, v9
	v_add_f16_e32 v6, v6, v21
	v_add_f16_e32 v9, v14, v9
	;; [unrolled: 1-line block ×3, first 2 shown]
	v_fmamk_f16 v14, v7, 0xbaee, v3
	v_fmamk_f16 v5, v11, 0x3aee, v10
	v_fmac_f16_e32 v3, 0x3aee, v7
	v_fmac_f16_e32 v10, 0xbaee, v11
	v_pack_b32_f16 v0, v6, v0
	v_pack_b32_f16 v1, v9, v1
	;; [unrolled: 1-line block ×6, first 2 shown]
	ds_store_2addr_b32 v25, v0, v1 offset1:99
	ds_store_2addr_b32 v19, v6, v5 offset0:70 offset1:169
	ds_store_2addr_b32 v20, v2, v3 offset0:140 offset1:239
	global_wb scope:SCOPE_SE
	s_wait_dscnt 0x0
	s_barrier_signal -1
	s_barrier_wait -1
	global_inv scope:SCOPE_SE
	s_and_b32 exec_lo, exec_lo, vcc_lo
	s_cbranch_execz .LBB0_15
; %bb.14:
	s_clause 0x6
	global_load_b32 v0, v23, s[12:13]
	global_load_b32 v1, v23, s[12:13] offset:216
	global_load_b32 v7, v23, s[12:13] offset:432
	;; [unrolled: 1-line block ×6, first 2 shown]
	v_mad_co_u64_u32 v[10:11], null, s2, v4, 0
	ds_load_b32 v25, v25
	v_mad_co_u64_u32 v[12:13], null, s0, v24, 0
	v_add_nc_u32_e32 v2, 0x400, v23
	ds_load_2addr_b32 v[14:15], v23 offset0:54 offset1:108
	ds_load_2addr_b32 v[16:17], v23 offset0:162 offset1:216
	s_mov_b32 s22, 0x2b18ff23
	v_mov_b32_e32 v3, v11
	s_mov_b32 s23, 0x3f5b951e
	ds_load_2addr_b32 v[18:19], v2 offset0:14 offset1:68
	s_mul_u64 s[20:21], s[0:1], 0xd8
	global_load_b32 v5, v23, s[12:13] offset:1512
	v_mad_co_u64_u32 v[20:21], null, s3, v4, v[3:4]
	s_delay_alu instid0(VALU_DEP_1)
	v_dual_mov_b32 v6, v13 :: v_dual_mov_b32 v11, v20
	s_wait_dscnt 0x2
	v_lshrrev_b32_e32 v27, 16, v15
	s_wait_dscnt 0x1
	v_lshrrev_b32_e32 v28, 16, v16
	v_lshrrev_b32_e32 v29, 16, v17
	v_lshlrev_b64_e32 v[10:11], 2, v[10:11]
	s_wait_dscnt 0x0
	v_lshrrev_b32_e32 v30, 16, v18
	v_lshrrev_b32_e32 v39, 16, v19
	s_wait_loadcnt 0x7
	v_lshrrev_b32_e32 v20, 16, v0
	s_wait_loadcnt 0x5
	v_mad_co_u64_u32 v[21:22], null, s1, v24, v[6:7]
	v_lshrrev_b32_e32 v22, 16, v25
	v_lshrrev_b32_e32 v24, 16, v14
	;; [unrolled: 1-line block ×3, first 2 shown]
	s_wait_loadcnt 0x4
	v_lshrrev_b32_e32 v33, 16, v8
	s_wait_loadcnt 0x2
	v_lshrrev_b32_e32 v35, 16, v26
	v_mul_f16_e32 v31, v22, v20
	v_mov_b32_e32 v13, v21
	v_lshrrev_b32_e32 v21, 16, v1
	v_mul_f16_e32 v20, v25, v20
	v_mul_f16_e32 v37, v27, v32
	v_fmac_f16_e32 v31, v25, v0
	v_lshrrev_b32_e32 v34, 16, v9
	v_mul_f16_e32 v25, v24, v21
	v_mul_f16_e32 v36, v14, v21
	v_fma_f16 v0, v0, v22, -v20
	v_cvt_f32_f16_e32 v21, v31
	v_mul_f16_e32 v22, v15, v32
	v_mul_f16_e32 v32, v16, v33
	v_fmac_f16_e32 v25, v14, v1
	v_cvt_f32_f16_e32 v0, v0
	v_cvt_f64_f32_e32 v[20:21], v21
	v_mul_f16_e32 v31, v28, v33
	v_fma_f16 v14, v1, v24, -v36
	v_fmac_f16_e32 v37, v15, v7
	v_mul_f16_e32 v36, v30, v35
	v_fma_f16 v28, v8, v28, -v32
	v_cvt_f32_f16_e32 v24, v25
	v_cvt_f64_f32_e32 v[0:1], v0
	v_mul_f16_e32 v33, v29, v34
	v_mul_f16_e32 v34, v17, v34
	v_fma_f16 v7, v7, v27, -v22
	v_cvt_f32_f16_e32 v22, v37
	v_mul_f16_e32 v27, v18, v35
	v_fmac_f16_e32 v31, v16, v8
	v_fmac_f16_e32 v36, v18, v26
	v_cvt_f32_f16_e32 v18, v28
	v_cvt_f32_f16_e32 v25, v14
	v_cvt_f64_f32_e32 v[14:15], v24
	v_cvt_f32_f16_e32 v16, v7
	v_cvt_f64_f32_e32 v[7:8], v22
	v_fmac_f16_e32 v33, v17, v9
	v_cvt_f32_f16_e32 v22, v31
	v_fma_f16 v9, v9, v29, -v34
	v_cvt_f64_f32_e32 v[28:29], v18
	v_cvt_f32_f16_e32 v18, v36
	v_cvt_f64_f32_e32 v[24:25], v25
	v_fma_f16 v30, v26, v30, -v27
	v_cvt_f64_f32_e32 v[26:27], v22
	v_cvt_f32_f16_e32 v22, v33
	v_cvt_f64_f32_e32 v[34:35], v18
	s_wait_loadcnt 0x1
	v_lshrrev_b32_e32 v18, 16, v38
	v_cvt_f32_f16_e32 v36, v30
	v_cvt_f64_f32_e32 v[16:17], v16
	v_cvt_f64_f32_e32 v[30:31], v22
	v_cvt_f32_f16_e32 v9, v9
	v_mul_f16_e32 v22, v39, v18
	v_cvt_f64_f32_e32 v[36:37], v36
	s_clause 0x2
	global_load_b32 v3, v23, s[12:13] offset:1728
	global_load_b32 v4, v23, s[12:13] offset:1944
	;; [unrolled: 1-line block ×3, first 2 shown]
	v_mul_f64_e32 v[20:21], s[22:23], v[20:21]
	v_cvt_f64_f32_e32 v[32:33], v9
	v_fmac_f16_e32 v22, v19, v38
	v_add_co_u32 v9, vcc_lo, s8, v10
	v_add_co_ci_u32_e32 v10, vcc_lo, s9, v11, vcc_lo
	s_delay_alu instid0(VALU_DEP_3) | instskip(SKIP_1) | instid1(VALU_DEP_2)
	v_cvt_f32_f16_e32 v22, v22
	v_mul_f64_e32 v[0:1], s[22:23], v[0:1]
	v_cvt_f64_f32_e32 v[40:41], v22
	v_mul_f64_e32 v[7:8], s[22:23], v[7:8]
	v_mul_f64_e32 v[28:29], s[22:23], v[28:29]
	;; [unrolled: 1-line block ×6, first 2 shown]
	v_bfe_u32 v22, v21, 20, 11
	v_mul_f64_e32 v[32:33], s[22:23], v[32:33]
	s_delay_alu instid0(VALU_DEP_2)
	v_sub_nc_u32_e32 v66, 0x3f1, v22
	v_add_nc_u32_e32 v22, 0xfffffc10, v22
	v_lshlrev_b64_e32 v[12:13], 2, v[12:13]
	v_and_or_b32 v0, 0x1ff, v1, v0
	v_lshrrev_b32_e32 v44, 8, v1
	v_bfe_u32 v45, v1, 20, 11
	v_lshrrev_b32_e32 v1, 16, v1
	v_add_co_u32 v9, vcc_lo, v9, v12
	v_mul_f64_e32 v[11:12], s[22:23], v[14:15]
	s_wait_alu 0xfffd
	v_add_co_ci_u32_e32 v10, vcc_lo, v10, v13, vcc_lo
	v_mul_f64_e32 v[13:14], s[22:23], v[24:25]
	v_mul_f16_e32 v15, v19, v18
	v_add_co_u32 v24, vcc_lo, v9, s20
	s_wait_alu 0xfffd
	v_add_co_ci_u32_e32 v25, vcc_lo, s21, v10, vcc_lo
	s_delay_alu instid0(VALU_DEP_3)
	v_fma_f16 v19, v38, v39, -v15
	v_mul_f64_e32 v[15:16], s[22:23], v[16:17]
	v_add_co_u32 v17, vcc_lo, v24, s20
	s_wait_alu 0xfffd
	v_add_co_ci_u32_e32 v18, vcc_lo, s21, v25, vcc_lo
	v_cvt_f32_f16_e32 v19, v19
	s_delay_alu instid0(VALU_DEP_3) | instskip(SKIP_1) | instid1(VALU_DEP_3)
	v_add_co_u32 v38, vcc_lo, v17, s20
	s_wait_alu 0xfffd
	v_add_co_ci_u32_e32 v39, vcc_lo, s21, v18, vcc_lo
	s_delay_alu instid0(VALU_DEP_3)
	v_cvt_f64_f32_e32 v[42:43], v19
	v_and_or_b32 v19, 0x1ff, v21, v20
	v_and_or_b32 v7, 0x1ff, v8, v7
	;; [unrolled: 1-line block ×5, first 2 shown]
	v_cmp_ne_u32_e32 vcc_lo, 0, v19
	v_and_or_b32 v32, 0x1ff, v33, v32
	v_and_or_b32 v34, 0x1ff, v35, v34
	v_lshrrev_b32_e32 v20, 8, v21
	v_and_or_b32 v36, 0x1ff, v37, v36
	s_wait_alu 0xfffd
	v_cndmask_b32_e64 v19, 0, 1, vcc_lo
	v_cmp_ne_u32_e32 vcc_lo, 0, v0
	v_sub_nc_u32_e32 v67, 0x3f1, v45
	v_bfe_u32 v51, v8, 20, 11
	v_lshrrev_b32_e32 v50, 8, v8
	v_and_or_b32 v19, 0xffe, v20, v19
	s_wait_alu 0xfffd
	v_cndmask_b32_e64 v0, 0, 1, vcc_lo
	v_and_or_b32 v11, 0x1ff, v12, v11
	v_lshrrev_b32_e32 v46, 8, v12
	v_bfe_u32 v47, v12, 20, 11
	v_and_or_b32 v13, 0x1ff, v14, v13
	v_bfe_u32 v49, v14, 20, 11
	v_cmp_ne_u32_e32 vcc_lo, 0, v11
	v_and_or_b32 v0, 0xffe, v44, v0
	v_lshrrev_b32_e32 v48, 8, v14
	v_sub_nc_u32_e32 v68, 0x3f1, v47
	v_sub_nc_u32_e32 v69, 0x3f1, v49
	s_wait_alu 0xfffd
	v_cndmask_b32_e64 v11, 0, 1, vcc_lo
	v_cmp_ne_u32_e32 vcc_lo, 0, v13
	v_and_or_b32 v15, 0x1ff, v16, v15
	v_bfe_u32 v53, v16, 20, 11
	v_med3_i32 v20, v66, 0, 13
	v_med3_i32 v44, v67, 0, 13
	s_wait_alu 0xfffd
	v_cndmask_b32_e64 v13, 0, 1, vcc_lo
	v_cmp_ne_u32_e32 vcc_lo, 0, v7
	v_and_or_b32 v11, 0xffe, v46, v11
	v_or_b32_e32 v66, 0x1000, v19
	v_lshl_or_b32 v67, v22, 12, v19
	v_add_nc_u32_e32 v45, 0xfffffc10, v45
	s_wait_alu 0xfffd
	v_cndmask_b32_e64 v7, 0, 1, vcc_lo
	v_cmp_ne_u32_e32 vcc_lo, 0, v15
	v_lshrrev_b32_e32 v52, 8, v16
	v_bfe_u32 v55, v27, 20, 11
	v_bfe_u32 v57, v29, 20, 11
	v_sub_nc_u32_e32 v70, 0x3f1, v51
	s_wait_alu 0xfffd
	v_cndmask_b32_e64 v15, 0, 1, vcc_lo
	v_cmp_ne_u32_e32 vcc_lo, 0, v26
	v_sub_nc_u32_e32 v71, 0x3f1, v53
	v_med3_i32 v46, v68, 0, 13
	v_and_or_b32 v13, 0xffe, v48, v13
	v_med3_i32 v48, v69, 0, 13
	s_wait_alu 0xfffd
	v_cndmask_b32_e64 v26, 0, 1, vcc_lo
	v_cmp_ne_u32_e32 vcc_lo, 0, v28
	v_or_b32_e32 v68, 0x1000, v0
	v_lshl_or_b32 v69, v45, 12, v0
	v_add_nc_u32_e32 v47, 0xfffffc10, v47
	v_lshrrev_b32_e32 v54, 8, v27
	s_wait_alu 0xfffd
	v_cndmask_b32_e64 v28, 0, 1, vcc_lo
	v_cmp_ne_u32_e32 vcc_lo, 0, v30
	v_lshrrev_b32_e32 v56, 8, v29
	v_bfe_u32 v59, v31, 20, 11
	v_bfe_u32 v61, v33, 20, 11
	v_sub_nc_u32_e32 v72, 0x3f1, v55
	s_wait_alu 0xfffd
	v_cndmask_b32_e64 v30, 0, 1, vcc_lo
	v_cmp_ne_u32_e32 vcc_lo, 0, v32
	v_sub_nc_u32_e32 v73, 0x3f1, v57
	v_and_or_b32 v7, 0xffe, v50, v7
	v_med3_i32 v50, v70, 0, 13
	v_and_or_b32 v15, 0xffe, v52, v15
	s_wait_alu 0xfffd
	v_cndmask_b32_e64 v32, 0, 1, vcc_lo
	v_cmp_ne_u32_e32 vcc_lo, 0, v34
	v_med3_i32 v52, v71, 0, 13
	v_or_b32_e32 v70, 0x1000, v11
	v_lshl_or_b32 v71, v47, 12, v11
	v_add_nc_u32_e32 v49, 0xfffffc10, v49
	s_wait_alu 0xfffd
	v_cndmask_b32_e64 v34, 0, 1, vcc_lo
	v_cmp_ne_u32_e32 vcc_lo, 0, v36
	v_lshrrev_b32_e32 v58, 8, v31
	v_lshrrev_b32_e32 v60, 8, v33
	v_bfe_u32 v63, v35, 20, 11
	v_sub_nc_u32_e32 v74, 0x3f1, v59
	s_wait_alu 0xfffd
	v_cndmask_b32_e64 v36, 0, 1, vcc_lo
	v_cmp_ne_u32_e32 vcc_lo, 0, v19
	v_sub_nc_u32_e32 v75, 0x3f1, v61
	v_and_or_b32 v26, 0xffe, v54, v26
	v_med3_i32 v54, v72, 0, 13
	v_and_or_b32 v28, 0xffe, v56, v28
	s_wait_alu 0xfffd
	v_cndmask_b32_e64 v19, 0, 1, vcc_lo
	v_cmp_ne_u32_e32 vcc_lo, 0, v0
	v_med3_i32 v56, v73, 0, 13
	v_or_b32_e32 v72, 0x1000, v13
	v_lshl_or_b32 v73, v49, 12, v13
	v_add_nc_u32_e32 v51, 0xfffffc10, v51
	s_wait_alu 0xfffd
	v_cndmask_b32_e64 v0, 0, 1, vcc_lo
	v_cmp_ne_u32_e32 vcc_lo, 0, v11
	v_lshrrev_b32_e32 v62, 8, v35
	v_sub_nc_u32_e32 v76, 0x3f1, v63
	v_and_or_b32 v30, 0xffe, v58, v30
	v_med3_i32 v58, v74, 0, 13
	s_wait_alu 0xfffd
	v_cndmask_b32_e64 v11, 0, 1, vcc_lo
	v_cmp_ne_u32_e32 vcc_lo, 0, v13
	v_and_or_b32 v32, 0xffe, v60, v32
	v_med3_i32 v60, v75, 0, 13
	v_or_b32_e32 v74, 0x1000, v7
	v_lshl_or_b32 v75, v51, 12, v7
	s_wait_alu 0xfffd
	v_cndmask_b32_e64 v13, 0, 1, vcc_lo
	v_cmp_ne_u32_e32 vcc_lo, 0, v7
	v_add_nc_u32_e32 v53, 0xfffffc10, v53
	v_and_or_b32 v34, 0xffe, v62, v34
	v_med3_i32 v62, v76, 0, 13
	v_or_b32_e32 v76, 0x1000, v15
	s_wait_alu 0xfffd
	v_cndmask_b32_e64 v7, 0, 1, vcc_lo
	v_cmp_ne_u32_e32 vcc_lo, 0, v15
	v_lshl_or_b32 v77, v53, 12, v15
	v_add_nc_u32_e32 v55, 0xfffffc10, v55
	v_or_b32_e32 v78, 0x1000, v26
	v_or_b32_e32 v80, 0x1000, v28
	s_wait_alu 0xfffd
	v_cndmask_b32_e64 v15, 0, 1, vcc_lo
	v_cmp_ne_u32_e32 vcc_lo, 0, v26
	v_lshl_or_b32 v79, v55, 12, v26
	v_add_nc_u32_e32 v57, 0xfffffc10, v57
	v_or_b32_e32 v82, 0x1000, v30
	v_lshrrev_b32_e32 v87, v20, v66
	s_wait_alu 0xfffd
	v_cndmask_b32_e64 v26, 0, 1, vcc_lo
	v_cmp_ne_u32_e32 vcc_lo, 0, v28
	v_lshl_or_b32 v81, v57, 12, v28
	v_add_nc_u32_e32 v59, 0xfffffc10, v59
	v_lshrrev_b32_e32 v88, v44, v68
	v_or_b32_e32 v84, 0x1000, v32
	s_wait_alu 0xfffd
	v_cndmask_b32_e64 v28, 0, 1, vcc_lo
	v_cmp_ne_u32_e32 vcc_lo, 0, v30
	v_lshl_or_b32 v83, v59, 12, v30
	v_add_nc_u32_e32 v61, 0xfffffc10, v61
	v_lshrrev_b32_e32 v89, v46, v70
	v_lshl_or_b32 v11, v11, 9, 0x7c00
	s_wait_alu 0xfffd
	v_cndmask_b32_e64 v30, 0, 1, vcc_lo
	v_cmp_ne_u32_e32 vcc_lo, 0, v32
	v_lshl_or_b32 v85, v61, 12, v32
	v_lshlrev_b32_e32 v44, v44, v88
	v_lshl_or_b32 v19, v19, 9, 0x7c00
	v_lshl_or_b32 v30, v30, 9, 0x7c00
	v_lshlrev_b32_e32 v20, v20, v87
	s_wait_alu 0xfffd
	v_cndmask_b32_e64 v32, 0, 1, vcc_lo
	v_lshrrev_b32_e32 v90, v48, v72
	v_lshlrev_b32_e32 v46, v46, v89
	v_lshrrev_b32_e32 v91, v50, v74
	v_cmp_ne_u32_e32 vcc_lo, v20, v66
	v_lshl_or_b32 v7, v7, 9, 0x7c00
	v_lshlrev_b32_e32 v48, v48, v90
	v_lshl_or_b32 v13, v13, 9, 0x7c00
	v_lshrrev_b32_e32 v92, v52, v76
	s_wait_alu 0xfffd
	v_cndmask_b32_e64 v20, 0, 1, vcc_lo
	v_cmp_ne_u32_e32 vcc_lo, v44, v68
	v_lshlrev_b32_e32 v50, v50, v91
	v_lshrrev_b32_e32 v93, v54, v78
	v_lshlrev_b32_e32 v52, v52, v92
	v_lshl_or_b32 v15, v15, 9, 0x7c00
	s_wait_alu 0xfffd
	v_cndmask_b32_e64 v44, 0, 1, vcc_lo
	v_cmp_ne_u32_e32 vcc_lo, v46, v70
	v_lshrrev_b32_e32 v94, v56, v80
	v_lshlrev_b32_e32 v54, v54, v93
	v_lshrrev_b32_e32 v95, v58, v82
	v_or_b32_e32 v86, 0x1000, v34
	s_wait_alu 0xfffd
	v_cndmask_b32_e64 v46, 0, 1, vcc_lo
	v_cmp_ne_u32_e32 vcc_lo, v48, v72
	v_lshlrev_b32_e32 v56, v56, v94
	v_lshrrev_b32_e32 v96, v60, v84
	v_lshlrev_b32_e32 v58, v58, v95
	v_lshrrev_b32_e32 v97, v62, v86
	s_wait_alu 0xfffd
	v_cndmask_b32_e64 v48, 0, 1, vcc_lo
	v_cmp_ne_u32_e32 vcc_lo, v50, v74
	v_lshlrev_b32_e32 v60, v60, v96
	v_or_b32_e32 v20, v87, v20
	v_lshlrev_b32_e32 v62, v62, v97
	v_or_b32_e32 v44, v88, v44
	s_wait_alu 0xfffd
	v_cndmask_b32_e64 v50, 0, 1, vcc_lo
	v_cmp_ne_u32_e32 vcc_lo, v52, v76
	v_or_b32_e32 v46, v89, v46
	v_or_b32_e32 v48, v90, v48
	v_lshl_or_b32 v26, v26, 9, 0x7c00
	v_or_b32_e32 v50, v91, v50
	s_wait_alu 0xfffd
	v_cndmask_b32_e64 v52, 0, 1, vcc_lo
	v_cmp_ne_u32_e32 vcc_lo, v54, v78
	v_lshrrev_b32_e32 v21, 16, v21
	v_lshl_or_b32 v0, v0, 9, 0x7c00
	v_lshrrev_b32_e32 v12, 16, v12
	v_or_b32_e32 v52, v92, v52
	s_wait_alu 0xfffd
	v_cndmask_b32_e64 v54, 0, 1, vcc_lo
	v_cmp_ne_u32_e32 vcc_lo, v56, v80
	v_lshrrev_b32_e32 v8, 16, v8
	v_lshrrev_b32_e32 v14, 16, v14
	v_lshl_or_b32 v28, v28, 9, 0x7c00
	v_or_b32_e32 v54, v93, v54
	s_wait_alu 0xfffd
	v_cndmask_b32_e64 v56, 0, 1, vcc_lo
	v_cmp_ne_u32_e32 vcc_lo, v58, v82
	v_lshrrev_b32_e32 v16, 16, v16
	v_lshrrev_b32_e32 v27, 16, v27
	;; [unrolled: 1-line block ×3, first 2 shown]
	v_or_b32_e32 v56, v94, v56
	s_wait_alu 0xfffd
	v_cndmask_b32_e64 v58, 0, 1, vcc_lo
	v_cmp_ne_u32_e32 vcc_lo, v60, v84
	v_lshrrev_b32_e32 v64, 8, v37
	v_bfe_u32 v65, v37, 20, 11
	v_lshrrev_b32_e32 v31, 16, v31
	v_or_b32_e32 v58, v95, v58
	s_wait_alu 0xfffd
	v_cndmask_b32_e64 v60, 0, 1, vcc_lo
	v_cmp_ne_u32_e32 vcc_lo, v62, v86
	s_delay_alu instid0(VALU_DEP_2) | instskip(SKIP_3) | instid1(VALU_DEP_2)
	v_or_b32_e32 v60, v96, v60
	s_wait_alu 0xfffd
	v_cndmask_b32_e64 v62, 0, 1, vcc_lo
	v_cmp_gt_i32_e32 vcc_lo, 1, v22
	v_or_b32_e32 v62, v97, v62
	s_wait_alu 0xfffd
	v_cndmask_b32_e32 v20, v67, v20, vcc_lo
	v_cmp_gt_i32_e32 vcc_lo, 1, v45
	s_delay_alu instid0(VALU_DEP_2)
	v_and_b32_e32 v66, 7, v20
	s_wait_alu 0xfffd
	v_cndmask_b32_e32 v44, v69, v44, vcc_lo
	v_cmp_gt_i32_e32 vcc_lo, 1, v47
	v_lshrrev_b32_e32 v20, 2, v20
	v_cmp_eq_u32_e64 s0, 3, v66
	s_wait_alu 0xfffd
	v_dual_cndmask_b32 v46, v71, v46 :: v_dual_and_b32 v67, 7, v44
	v_cmp_gt_i32_e32 vcc_lo, 1, v49
	v_lshrrev_b32_e32 v44, 2, v44
	s_delay_alu instid0(VALU_DEP_3) | instskip(NEXT) | instid1(VALU_DEP_4)
	v_cmp_lt_i32_e64 s1, 5, v67
	v_and_b32_e32 v68, 7, v46
	s_wait_alu 0xfffd
	v_cndmask_b32_e32 v48, v73, v48, vcc_lo
	v_cmp_gt_i32_e32 vcc_lo, 1, v51
	v_cmp_eq_u32_e64 s2, 3, v67
	v_lshrrev_b32_e32 v46, 2, v46
	v_cmp_lt_i32_e64 s3, 5, v68
	s_wait_alu 0xfffd
	v_dual_cndmask_b32 v50, v75, v50 :: v_dual_and_b32 v69, 7, v48
	v_cmp_gt_i32_e32 vcc_lo, 1, v53
	v_cmp_eq_u32_e64 s4, 3, v68
	v_lshrrev_b32_e32 v48, 2, v48
	s_delay_alu instid0(VALU_DEP_4)
	v_cmp_lt_i32_e64 s5, 5, v69
	v_and_b32_e32 v70, 7, v50
	s_wait_alu 0xfffd
	v_cndmask_b32_e32 v52, v77, v52, vcc_lo
	v_cmp_gt_i32_e32 vcc_lo, 1, v55
	v_cmp_eq_u32_e64 s6, 3, v69
	v_lshrrev_b32_e32 v50, 2, v50
	v_cmp_lt_i32_e64 s7, 5, v70
	s_wait_alu 0xfffd
	v_dual_cndmask_b32 v54, v79, v54 :: v_dual_and_b32 v71, 7, v52
	v_cmp_gt_i32_e32 vcc_lo, 1, v57
	v_cmp_eq_u32_e64 s8, 3, v70
	v_lshrrev_b32_e32 v52, 2, v52
	s_delay_alu instid0(VALU_DEP_4)
	v_cmp_lt_i32_e64 s9, 5, v71
	v_and_b32_e32 v72, 7, v54
	s_wait_alu 0xfffd
	v_cndmask_b32_e32 v56, v81, v56, vcc_lo
	v_cmp_gt_i32_e32 vcc_lo, 1, v59
	v_cmp_eq_u32_e64 s10, 3, v71
	v_lshrrev_b32_e32 v54, 2, v54
	v_cmp_lt_i32_e64 s11, 5, v72
	s_wait_alu 0xfffd
	v_dual_cndmask_b32 v58, v83, v58 :: v_dual_and_b32 v73, 7, v56
	v_cmp_gt_i32_e32 vcc_lo, 1, v61
	v_add_nc_u32_e32 v63, 0xfffffc10, v63
	v_cmp_eq_u32_e64 s12, 3, v72
	s_delay_alu instid0(VALU_DEP_4)
	v_cmp_lt_i32_e64 s13, 5, v73
	v_and_b32_e32 v74, 7, v58
	s_wait_alu 0xfffd
	v_cndmask_b32_e32 v60, v85, v60, vcc_lo
	v_cmp_lt_i32_e32 vcc_lo, 5, v66
	v_cmp_eq_u32_e64 s14, 3, v73
	v_lshrrev_b32_e32 v56, 2, v56
	v_cmp_lt_i32_e64 s15, 5, v74
	v_and_b32_e32 v75, 7, v60
	s_or_b32 vcc_lo, s0, vcc_lo
	v_cmp_eq_u32_e64 s16, 3, v74
	s_wait_alu 0xfffe
	v_add_co_ci_u32_e32 v20, vcc_lo, 0, v20, vcc_lo
	s_or_b32 vcc_lo, s2, s1
	v_lshrrev_b32_e32 v58, 2, v58
	s_wait_alu 0xfffe
	v_add_co_ci_u32_e32 v44, vcc_lo, 0, v44, vcc_lo
	s_or_b32 vcc_lo, s4, s3
	v_cmp_lt_i32_e64 s17, 5, v75
	s_wait_alu 0xfffe
	v_add_co_ci_u32_e32 v46, vcc_lo, 0, v46, vcc_lo
	s_or_b32 vcc_lo, s6, s5
	v_cmp_eq_u32_e64 s18, 3, v75
	s_wait_alu 0xfffe
	v_add_co_ci_u32_e32 v48, vcc_lo, 0, v48, vcc_lo
	s_or_b32 vcc_lo, s8, s7
	v_lshrrev_b32_e32 v60, 2, v60
	s_wait_alu 0xfffe
	v_add_co_ci_u32_e32 v50, vcc_lo, 0, v50, vcc_lo
	s_or_b32 vcc_lo, s10, s9
	s_wait_alu 0xfffe
	v_add_co_ci_u32_e32 v52, vcc_lo, 0, v52, vcc_lo
	s_or_b32 vcc_lo, s12, s11
	;; [unrolled: 3-line block ×5, first 2 shown]
	s_wait_alu 0xfffe
	v_add_co_ci_u32_e32 v60, vcc_lo, 0, v60, vcc_lo
	v_cmp_gt_i32_e32 vcc_lo, 31, v22
	s_wait_alu 0xfffd
	v_cndmask_b32_e32 v20, 0x7c00, v20, vcc_lo
	v_cmp_gt_i32_e32 vcc_lo, 31, v45
	s_wait_alu 0xfffd
	v_cndmask_b32_e32 v44, 0x7c00, v44, vcc_lo
	;; [unrolled: 3-line block ×10, first 2 shown]
	v_cmp_eq_u32_e32 vcc_lo, 0x40f, v22
	s_wait_alu 0xfffd
	v_cndmask_b32_e32 v19, v20, v19, vcc_lo
	v_cmp_eq_u32_e32 vcc_lo, 0x40f, v45
	s_delay_alu instid0(VALU_DEP_2) | instskip(SKIP_4) | instid1(VALU_DEP_3)
	v_and_or_b32 v19, 0x8000, v21, v19
	s_wait_alu 0xfffd
	v_cndmask_b32_e32 v0, v44, v0, vcc_lo
	v_cmp_eq_u32_e32 vcc_lo, 0x40f, v47
	v_lshrrev_b32_e32 v21, 16, v35
	v_and_or_b32 v0, 0x8000, v1, v0
	s_wait_alu 0xfffd
	v_cndmask_b32_e32 v11, v46, v11, vcc_lo
	v_cmp_eq_u32_e32 vcc_lo, 0x40f, v49
	s_delay_alu instid0(VALU_DEP_2) | instskip(SKIP_3) | instid1(VALU_DEP_3)
	v_and_or_b32 v1, 0x8000, v12, v11
	s_wait_alu 0xfffd
	v_cndmask_b32_e32 v13, v48, v13, vcc_lo
	v_cmp_eq_u32_e32 vcc_lo, 0x40f, v51
	v_and_b32_e32 v1, 0xffff, v1
	s_delay_alu instid0(VALU_DEP_3)
	v_and_or_b32 v11, 0x8000, v14, v13
	v_and_b32_e32 v13, 0xffff, v19
	s_wait_alu 0xfffd
	v_cndmask_b32_e32 v7, v50, v7, vcc_lo
	v_cmp_eq_u32_e32 vcc_lo, 0x40f, v53
	s_wait_loadcnt 0x3
	v_lshrrev_b32_e32 v19, 16, v5
	v_lshl_or_b32 v1, v11, 16, v1
	v_lshl_or_b32 v0, v0, 16, v13
	v_and_or_b32 v7, 0x8000, v8, v7
	s_wait_alu 0xfffd
	v_cndmask_b32_e32 v15, v52, v15, vcc_lo
	v_cmp_eq_u32_e32 vcc_lo, 0x40f, v55
	v_and_or_b32 v13, 0xffe, v64, v36
	v_and_b32_e32 v7, 0xffff, v7
	s_delay_alu instid0(VALU_DEP_4)
	v_and_or_b32 v8, 0x8000, v16, v15
	s_wait_alu 0xfffd
	v_cndmask_b32_e32 v20, v54, v26, vcc_lo
	v_cmp_eq_u32_e32 vcc_lo, 0x40f, v57
	v_lshrrev_b32_e32 v16, 16, v33
	s_wait_loadcnt 0x2
	v_lshrrev_b32_e32 v26, 16, v3
	v_lshl_or_b32 v7, v8, 16, v7
	v_and_or_b32 v12, 0x8000, v27, v20
	s_wait_alu 0xfffd
	v_cndmask_b32_e32 v22, v56, v28, vcc_lo
	v_cmp_eq_u32_e32 vcc_lo, 0x40f, v59
	s_clause 0x2
	global_store_b32 v[9:10], v0, off
	global_store_b32 v[24:25], v1, off
	;; [unrolled: 1-line block ×3, first 2 shown]
	v_lshl_or_b32 v0, v63, 12, v34
	v_and_b32_e32 v12, 0xffff, v12
	v_and_or_b32 v14, 0x8000, v29, v22
	s_wait_alu 0xfffd
	v_cndmask_b32_e32 v11, v58, v30, vcc_lo
	v_sub_nc_u32_e32 v1, 0x3f1, v65
	v_cmp_gt_i32_e32 vcc_lo, 1, v63
	v_lshl_or_b32 v7, v32, 9, 0x7c00
	v_lshl_or_b32 v12, v14, 16, v12
	v_or_b32_e32 v10, 0x1000, v13
	v_med3_i32 v14, v1, 0, 13
	s_wait_alu 0xfffd
	v_cndmask_b32_e32 v9, v0, v62, vcc_lo
	v_cmp_eq_u32_e32 vcc_lo, 0x40f, v61
	v_mul_f64_e32 v[0:1], s[22:23], v[40:41]
	global_store_b32 v[38:39], v12, off
	v_lshrrev_b32_e32 v17, v14, v10
	v_and_or_b32 v11, 0x8000, v31, v11
	s_wait_alu 0xfffd
	v_cndmask_b32_e32 v15, v60, v7, vcc_lo
	ds_load_2addr_b32 v[7:8], v2 offset0:122 offset1:176
	v_and_b32_e32 v2, 7, v9
	v_lshlrev_b32_e32 v12, v14, v17
	v_add_nc_u32_e32 v14, 0xfffffc10, v65
	v_and_or_b32 v15, 0x8000, v16, v15
	v_and_b32_e32 v20, 0xffff, v11
	v_cmp_lt_i32_e32 vcc_lo, 5, v2
	v_cmp_eq_u32_e64 s0, 3, v2
	v_lshrrev_b32_e32 v2, 2, v9
	v_cmp_ne_u32_e64 s1, v12, v10
	v_lshl_or_b32 v16, v14, 12, v13
	v_mul_f64_e32 v[9:10], s[22:23], v[42:43]
	s_or_b32 vcc_lo, s0, vcc_lo
	v_lshl_or_b32 v20, v15, 16, v20
	s_wait_alu 0xfffe
	v_add_co_ci_u32_e32 v2, vcc_lo, 0, v2, vcc_lo
	v_cndmask_b32_e64 v12, 0, 1, s1
	v_cmp_ne_u32_e32 vcc_lo, 0, v34
	s_wait_dscnt 0x0
	v_lshrrev_b32_e32 v18, 16, v7
	s_delay_alu instid0(VALU_DEP_3)
	v_or_b32_e32 v12, v17, v12
	s_wait_alu 0xfffd
	v_cndmask_b32_e64 v17, 0, 1, vcc_lo
	v_cmp_gt_i32_e32 vcc_lo, 1, v14
	s_wait_alu 0xfffd
	v_cndmask_b32_e32 v16, v16, v12, vcc_lo
	v_cmp_gt_i32_e32 vcc_lo, 31, v63
	v_lshl_or_b32 v12, v17, 9, 0x7c00
	v_mul_f16_e32 v17, v18, v19
	s_wait_alu 0xfffd
	v_dual_cndmask_b32 v2, 0x7c00, v2 :: v_dual_and_b32 v11, 7, v16
	v_cmp_eq_u32_e32 vcc_lo, 0x40f, v63
	s_delay_alu instid0(VALU_DEP_3) | instskip(SKIP_1) | instid1(VALU_DEP_4)
	v_fmac_f16_e32 v17, v7, v5
	v_and_or_b32 v0, 0x1ff, v1, v0
	v_cmp_eq_u32_e64 s0, 3, v11
	v_bfe_u32 v22, v1, 20, 11
	s_wait_alu 0xfffd
	v_cndmask_b32_e32 v2, v2, v12, vcc_lo
	v_cmp_lt_i32_e32 vcc_lo, 5, v11
	v_cvt_f32_f16_e32 v11, v17
	v_cmp_ne_u32_e64 s1, 0, v0
	v_lshrrev_b32_e32 v16, 2, v16
	v_lshrrev_b32_e32 v17, 8, v1
	s_or_b32 vcc_lo, s0, vcc_lo
	v_cvt_f64_f32_e32 v[11:12], v11
	v_cndmask_b32_e64 v0, 0, 1, s1
	s_wait_alu 0xfffe
	v_add_co_ci_u32_e32 v16, vcc_lo, 0, v16, vcc_lo
	v_cmp_gt_i32_e32 vcc_lo, 31, v14
	v_and_or_b32 v2, 0x8000, v21, v2
	v_and_or_b32 v0, 0xffe, v17, v0
	v_sub_nc_u32_e32 v17, 0x3f1, v22
	v_and_or_b32 v9, 0x1ff, v10, v9
	s_wait_alu 0xfffd
	v_cndmask_b32_e32 v16, 0x7c00, v16, vcc_lo
	v_cmp_ne_u32_e32 vcc_lo, 0, v13
	v_or_b32_e32 v21, 0x1000, v0
	v_med3_i32 v17, v17, 0, 13
	v_mul_f16_e32 v7, v7, v19
	v_lshrrev_b32_e32 v25, 8, v10
	s_wait_alu 0xfffd
	v_cndmask_b32_e64 v13, 0, 1, vcc_lo
	v_cmp_ne_u32_e32 vcc_lo, 0, v9
	v_lshrrev_b32_e32 v24, v17, v21
	v_fma_f16 v5, v5, v18, -v7
	v_bfe_u32 v19, v10, 20, 11
	v_lshl_or_b32 v13, v13, 9, 0x7c00
	s_wait_alu 0xfffd
	v_cndmask_b32_e64 v9, 0, 1, vcc_lo
	v_lshlrev_b32_e32 v17, v17, v24
	v_cvt_f32_f16_e32 v5, v5
	v_sub_nc_u32_e32 v7, 0x3f1, v19
	v_and_b32_e32 v2, 0xffff, v2
	v_and_or_b32 v9, 0xffe, v25, v9
	v_cmp_ne_u32_e32 vcc_lo, v17, v21
	v_add_nc_u32_e32 v21, 0xfffffc10, v22
	v_med3_i32 v7, v7, 0, 13
	v_add_nc_u32_e32 v19, 0xfffffc10, v19
	v_or_b32_e32 v18, 0x1000, v9
	s_wait_alu 0xfffd
	v_cndmask_b32_e64 v17, 0, 1, vcc_lo
	v_cmp_eq_u32_e32 vcc_lo, 0x40f, v14
	v_cmp_gt_i32_e64 s1, 1, v19
	v_lshrrev_b32_e32 v22, v7, v18
	v_mul_f64_e32 v[11:12], s[22:23], v[11:12]
	s_wait_alu 0xfffd
	v_cndmask_b32_e32 v16, v16, v13, vcc_lo
	v_cvt_f64_f32_e32 v[13:14], v5
	v_or_b32_e32 v5, v24, v17
	v_lshl_or_b32 v17, v21, 12, v0
	v_cmp_gt_i32_e32 vcc_lo, 1, v21
	v_lshlrev_b32_e32 v7, v7, v22
	v_lshrrev_b32_e32 v24, 16, v37
	s_wait_alu 0xfffd
	v_cndmask_b32_e32 v5, v17, v5, vcc_lo
	s_delay_alu instid0(VALU_DEP_3) | instskip(NEXT) | instid1(VALU_DEP_3)
	v_cmp_ne_u32_e32 vcc_lo, v7, v18
	v_and_or_b32 v17, 0x8000, v24, v16
	s_delay_alu instid0(VALU_DEP_3)
	v_and_b32_e32 v24, 7, v5
	s_wait_alu 0xfffd
	v_cndmask_b32_e64 v7, 0, 1, vcc_lo
	v_add_co_u32 v15, vcc_lo, v38, s20
	v_lshl_or_b32 v25, v17, 16, v2
	s_wait_alu 0xfffd
	v_add_co_ci_u32_e32 v16, vcc_lo, s21, v39, vcc_lo
	v_or_b32_e32 v2, v22, v7
	v_lshl_or_b32 v7, v19, 12, v9
	v_lshrrev_b32_e32 v22, 16, v8
	v_cmp_lt_i32_e32 vcc_lo, 5, v24
	v_cmp_eq_u32_e64 s0, 3, v24
	v_lshrrev_b32_e32 v5, 2, v5
	s_wait_alu 0xf1ff
	v_cndmask_b32_e64 v2, v7, v2, s1
	v_mul_f16_e32 v7, v22, v26
	s_or_b32 vcc_lo, s0, vcc_lo
	s_wait_alu 0xfffe
	v_add_co_ci_u32_e32 v5, vcc_lo, 0, v5, vcc_lo
	v_cmp_ne_u32_e32 vcc_lo, 0, v0
	v_fmac_f16_e32 v7, v8, v3
	v_and_b32_e32 v17, 7, v2
	v_and_or_b32 v11, 0x1ff, v12, v11
	v_bfe_u32 v24, v12, 20, 11
	v_mul_f64_e32 v[13:14], s[22:23], v[13:14]
	s_wait_alu 0xfffd
	v_cndmask_b32_e64 v0, 0, 1, vcc_lo
	v_cmp_gt_i32_e32 vcc_lo, 31, v21
	v_cvt_f32_f16_e32 v7, v7
	v_cmp_ne_u32_e64 s1, 0, v11
	v_cmp_eq_u32_e64 s0, 3, v17
	v_lshl_or_b32 v0, v0, 9, 0x7c00
	s_wait_alu 0xfffd
	v_cndmask_b32_e32 v5, 0x7c00, v5, vcc_lo
	v_cmp_lt_i32_e32 vcc_lo, 5, v17
	v_cvt_f64_f32_e32 v[17:18], v7
	s_wait_alu 0xf1ff
	v_cndmask_b32_e64 v7, 0, 1, s1
	v_cmp_eq_u32_e64 s1, 0x40f, v21
	v_lshrrev_b32_e32 v11, 8, v12
	s_or_b32 vcc_lo, s0, vcc_lo
	v_lshrrev_b32_e32 v21, 16, v1
	v_lshrrev_b32_e32 v12, 16, v12
	v_cndmask_b32_e64 v5, v5, v0, s1
	v_lshrrev_b32_e32 v0, 2, v2
	v_and_or_b32 v11, 0xffe, v11, v7
	v_sub_nc_u32_e32 v2, 0x3f1, v24
	s_delay_alu instid0(VALU_DEP_4)
	v_and_or_b32 v5, 0x8000, v21, v5
	s_wait_alu 0xfffe
	v_add_co_ci_u32_e32 v0, vcc_lo, 0, v0, vcc_lo
	v_cmp_ne_u32_e32 vcc_lo, 0, v9
	v_or_b32_e32 v9, 0x1000, v11
	v_med3_i32 v2, v2, 0, 13
	v_and_b32_e32 v5, 0xffff, v5
	s_wait_alu 0xfffd
	v_cndmask_b32_e64 v7, 0, 1, vcc_lo
	v_cmp_gt_i32_e32 vcc_lo, 31, v19
	v_lshrrev_b32_e32 v28, v2, v9
	s_delay_alu instid0(VALU_DEP_3)
	v_lshl_or_b32 v7, v7, 9, 0x7c00
	s_wait_alu 0xfffd
	v_cndmask_b32_e32 v27, 0x7c00, v0, vcc_lo
	v_add_co_u32 v0, vcc_lo, v15, s20
	s_wait_alu 0xfffd
	v_add_co_ci_u32_e32 v1, vcc_lo, s21, v16, vcc_lo
	v_lshlrev_b32_e32 v2, v2, v28
	v_cmp_eq_u32_e32 vcc_lo, 0x40f, v19
	v_lshrrev_b32_e32 v21, 8, v14
	s_wait_alu 0xfffd
	v_cndmask_b32_e32 v19, v27, v7, vcc_lo
	v_and_or_b32 v7, 0x1ff, v14, v13
	v_cmp_ne_u32_e32 vcc_lo, v2, v9
	v_mul_f16_e32 v2, v8, v26
	v_lshrrev_b32_e32 v13, 16, v10
	v_bfe_u32 v26, v14, 20, 11
	v_lshrrev_b32_e32 v14, 16, v14
	s_wait_alu 0xfffd
	v_cndmask_b32_e64 v9, 0, 1, vcc_lo
	v_cmp_ne_u32_e32 vcc_lo, 0, v7
	v_mul_f64_e32 v[7:8], s[22:23], v[17:18]
	v_fma_f16 v2, v3, v22, -v2
	v_add_nc_u32_e32 v3, 0x600, v23
	v_add_nc_u32_e32 v17, 0xfffffc10, v24
	s_wait_alu 0xfffd
	v_cndmask_b32_e64 v10, 0, 1, vcc_lo
	v_or_b32_e32 v22, v28, v9
	v_and_or_b32 v13, 0x8000, v13, v19
	v_lshl_or_b32 v23, v17, 12, v11
	s_delay_alu instid0(VALU_DEP_4)
	v_and_or_b32 v18, 0xffe, v21, v10
	v_sub_nc_u32_e32 v10, 0x3f1, v26
	v_cvt_f32_f16_e32 v21, v2
	ds_load_2addr_b32 v[2:3], v3 offset0:102 offset1:156
	v_cmp_gt_i32_e32 vcc_lo, 1, v17
	v_or_b32_e32 v24, 0x1000, v18
	v_med3_i32 v27, v10, 0, 13
	v_cvt_f64_f32_e32 v[9:10], v21
	global_store_b32 v[15:16], v20, off
	global_store_b32 v[0:1], v25, off
	s_wait_alu 0xfffd
	v_cndmask_b32_e32 v19, v23, v22, vcc_lo
	v_lshl_or_b32 v20, v13, 16, v5
	v_lshrrev_b32_e32 v21, v27, v24
	v_add_co_u32 v0, vcc_lo, v0, s20
	s_delay_alu instid0(VALU_DEP_4)
	v_and_b32_e32 v5, 7, v19
	s_wait_alu 0xfffd
	v_add_co_ci_u32_e32 v1, vcc_lo, s21, v1, vcc_lo
	v_lshlrev_b32_e32 v13, v27, v21
	s_wait_loadcnt 0x1
	v_lshrrev_b32_e32 v23, 16, v4
	v_cmp_lt_i32_e32 vcc_lo, 5, v5
	v_cmp_eq_u32_e64 s1, 0x40f, v17
	v_cmp_ne_u32_e64 s0, v13, v24
	s_wait_dscnt 0x0
	v_lshrrev_b32_e32 v22, 16, v2
	v_add_nc_u32_e32 v24, 0xfffffc10, v26
	s_wait_alu 0xf1ff
	v_cndmask_b32_e64 v13, 0, 1, s0
	v_cmp_eq_u32_e64 s0, 3, v5
	v_lshrrev_b32_e32 v5, 2, v19
	v_mul_f16_e32 v15, v22, v23
	v_lshl_or_b32 v16, v24, 12, v18
	v_or_b32_e32 v13, v21, v13
	s_or_b32 vcc_lo, s0, vcc_lo
	v_and_or_b32 v7, 0x1ff, v8, v7
	s_wait_alu 0xfffe
	v_add_co_ci_u32_e32 v5, vcc_lo, 0, v5, vcc_lo
	v_cmp_gt_i32_e32 vcc_lo, 1, v24
	v_fmac_f16_e32 v15, v2, v4
	v_lshrrev_b32_e32 v19, 8, v8
	v_bfe_u32 v21, v8, 20, 11
	v_mul_f16_e32 v2, v2, v23
	s_wait_alu 0xfffd
	v_cndmask_b32_e32 v13, v16, v13, vcc_lo
	v_cmp_ne_u32_e32 vcc_lo, 0, v7
	v_cvt_f32_f16_e32 v15, v15
	v_mul_f64_e32 v[9:10], s[22:23], v[9:10]
	v_fma_f16 v2, v4, v22, -v2
	v_and_b32_e32 v25, 7, v13
	s_wait_alu 0xfffd
	v_cndmask_b32_e64 v7, 0, 1, vcc_lo
	v_cmp_ne_u32_e32 vcc_lo, 0, v11
	v_cvt_f64_f32_e32 v[15:16], v15
	v_lshrrev_b32_e32 v13, 2, v13
	v_cmp_eq_u32_e64 s0, 3, v25
	v_and_or_b32 v7, 0xffe, v19, v7
	s_wait_alu 0xfffd
	v_cndmask_b32_e64 v11, 0, 1, vcc_lo
	v_cmp_gt_i32_e32 vcc_lo, 31, v17
	v_sub_nc_u32_e32 v19, 0x3f1, v21
	v_add_nc_u32_e32 v21, 0xfffffc10, v21
	v_or_b32_e32 v26, 0x1000, v7
	v_lshl_or_b32 v11, v11, 9, 0x7c00
	s_wait_alu 0xfffd
	v_cndmask_b32_e32 v5, 0x7c00, v5, vcc_lo
	v_cmp_lt_i32_e32 vcc_lo, 5, v25
	v_med3_i32 v19, v19, 0, 13
	v_cvt_f32_f16_e32 v2, v2
	v_lshrrev_b32_e32 v8, 16, v8
	v_cndmask_b32_e64 v5, v5, v11, s1
	s_or_b32 vcc_lo, s0, vcc_lo
	v_lshrrev_b32_e32 v11, v19, v26
	s_wait_alu 0xfffe
	v_add_co_ci_u32_e32 v13, vcc_lo, 0, v13, vcc_lo
	v_cmp_ne_u32_e32 vcc_lo, 0, v18
	s_delay_alu instid0(VALU_DEP_3) | instskip(SKIP_4) | instid1(VALU_DEP_3)
	v_lshlrev_b32_e32 v18, v19, v11
	v_and_or_b32 v19, 0x8000, v12, v5
	s_wait_alu 0xfffd
	v_cndmask_b32_e64 v17, 0, 1, vcc_lo
	v_cmp_gt_i32_e32 vcc_lo, 31, v24
	v_and_b32_e32 v19, 0xffff, v19
	s_delay_alu instid0(VALU_DEP_3)
	v_lshl_or_b32 v17, v17, 9, 0x7c00
	s_wait_alu 0xfffd
	v_cndmask_b32_e32 v13, 0x7c00, v13, vcc_lo
	v_cmp_ne_u32_e32 vcc_lo, v18, v26
	v_and_or_b32 v9, 0x1ff, v10, v9
	s_wait_alu 0xfffd
	v_cndmask_b32_e64 v18, 0, 1, vcc_lo
	v_cmp_eq_u32_e32 vcc_lo, 0x40f, v24
	s_wait_alu 0xfffd
	v_cndmask_b32_e32 v5, v13, v17, vcc_lo
	s_delay_alu instid0(VALU_DEP_3)
	v_or_b32_e32 v13, v11, v18
	v_lshl_or_b32 v17, v21, 12, v7
	v_cmp_gt_i32_e32 vcc_lo, 1, v21
	v_mul_f64_e32 v[11:12], s[22:23], v[15:16]
	v_bfe_u32 v15, v10, 20, 11
	v_and_or_b32 v14, 0x8000, v14, v5
	s_wait_loadcnt 0x0
	v_lshrrev_b32_e32 v18, 16, v6
	s_wait_alu 0xfffd
	v_cndmask_b32_e32 v13, v17, v13, vcc_lo
	v_cmp_ne_u32_e32 vcc_lo, 0, v9
	v_lshrrev_b32_e32 v9, 8, v10
	v_lshrrev_b32_e32 v10, 16, v10
	s_delay_alu instid0(VALU_DEP_4) | instskip(SKIP_3) | instid1(VALU_DEP_3)
	v_and_b32_e32 v16, 7, v13
	s_wait_alu 0xfffd
	v_cndmask_b32_e64 v4, 0, 1, vcc_lo
	v_lshrrev_b32_e32 v13, 2, v13
	v_cmp_lt_i32_e32 vcc_lo, 5, v16
	s_delay_alu instid0(VALU_DEP_3)
	v_and_or_b32 v17, 0xffe, v9, v4
	v_cvt_f64_f32_e32 v[4:5], v2
	v_lshrrev_b32_e32 v9, 16, v3
	v_cmp_eq_u32_e64 s0, 3, v16
	v_sub_nc_u32_e32 v2, 0x3f1, v15
	v_or_b32_e32 v22, 0x1000, v17
	v_lshl_or_b32 v16, v14, 16, v19
	v_mul_f16_e32 v23, v9, v18
	s_or_b32 vcc_lo, s0, vcc_lo
	v_med3_i32 v2, v2, 0, 13
	s_wait_alu 0xfffe
	v_add_co_ci_u32_e32 v13, vcc_lo, 0, v13, vcc_lo
	v_fmac_f16_e32 v23, v3, v6
	v_cmp_ne_u32_e32 vcc_lo, 0, v7
	v_lshrrev_b32_e32 v19, v2, v22
	v_add_nc_u32_e32 v15, 0xfffffc10, v15
	v_mul_f16_e32 v3, v3, v18
	v_cvt_f32_f16_e32 v14, v23
	s_wait_alu 0xfffd
	v_cndmask_b32_e64 v7, 0, 1, vcc_lo
	v_cmp_gt_i32_e32 vcc_lo, 31, v21
	v_lshlrev_b32_e32 v2, v2, v19
	v_fma_f16 v6, v6, v9, -v3
	v_lshl_or_b32 v9, v15, 12, v17
	v_and_or_b32 v11, 0x1ff, v12, v11
	s_wait_alu 0xfffd
	v_cndmask_b32_e32 v23, 0x7c00, v13, vcc_lo
	v_cvt_f64_f32_e32 v[13:14], v14
	v_cmp_ne_u32_e32 vcc_lo, v2, v22
	v_lshrrev_b32_e32 v18, 8, v12
	v_bfe_u32 v22, v12, 20, 11
	v_lshl_or_b32 v7, v7, 9, 0x7c00
	v_lshrrev_b32_e32 v12, 16, v12
	s_wait_alu 0xfffd
	v_cndmask_b32_e64 v2, 0, 1, vcc_lo
	v_cmp_ne_u32_e32 vcc_lo, 0, v11
	s_delay_alu instid0(VALU_DEP_2)
	v_or_b32_e32 v19, v19, v2
	s_wait_alu 0xfffd
	v_cndmask_b32_e64 v11, 0, 1, vcc_lo
	v_cmp_gt_i32_e32 vcc_lo, 1, v15
	v_mul_f64_e32 v[2:3], s[22:23], v[4:5]
	v_sub_nc_u32_e32 v4, 0x3f1, v22
	v_cvt_f32_f16_e32 v5, v6
	v_and_or_b32 v11, 0xffe, v18, v11
	s_wait_alu 0xfffd
	v_cndmask_b32_e32 v9, v9, v19, vcc_lo
	v_cmp_eq_u32_e32 vcc_lo, 0x40f, v21
	v_med3_i32 v19, v4, 0, 13
	v_cvt_f64_f32_e32 v[4:5], v5
	v_or_b32_e32 v18, 0x1000, v11
	s_wait_alu 0xfffd
	v_cndmask_b32_e32 v21, v23, v7, vcc_lo
	v_and_b32_e32 v23, 7, v9
	v_add_co_u32 v6, vcc_lo, v0, s20
	v_lshrrev_b32_e32 v24, v19, v18
	s_wait_alu 0xfffd
	v_add_co_ci_u32_e32 v7, vcc_lo, s21, v1, vcc_lo
	v_cmp_lt_i32_e32 vcc_lo, 5, v23
	v_cmp_eq_u32_e64 s0, 3, v23
	v_lshrrev_b32_e32 v23, 2, v9
	v_lshlrev_b32_e32 v19, v19, v24
	v_and_or_b32 v21, 0x8000, v8, v21
	s_delay_alu instid0(VALU_DEP_4)
	s_or_b32 vcc_lo, s0, vcc_lo
	v_mul_f64_e32 v[8:9], s[22:23], v[13:14]
	s_wait_alu 0xfffe
	v_add_co_ci_u32_e32 v13, vcc_lo, 0, v23, vcc_lo
	v_cmp_ne_u32_e64 s1, v19, v18
	v_cmp_ne_u32_e32 vcc_lo, 0, v17
	v_add_nc_u32_e32 v19, 0xfffffc10, v22
	s_wait_alu 0xf1ff
	s_delay_alu instid0(VALU_DEP_3) | instskip(SKIP_3) | instid1(VALU_DEP_3)
	v_cndmask_b32_e64 v18, 0, 1, s1
	s_wait_alu 0xfffd
	v_cndmask_b32_e64 v14, 0, 1, vcc_lo
	v_cmp_gt_i32_e32 vcc_lo, 31, v15
	v_or_b32_e32 v17, v24, v18
	v_lshl_or_b32 v18, v19, 12, v11
	s_wait_alu 0xfffd
	v_cndmask_b32_e32 v13, 0x7c00, v13, vcc_lo
	v_cmp_gt_i32_e32 vcc_lo, 1, v19
	v_lshl_or_b32 v14, v14, 9, 0x7c00
	v_and_or_b32 v2, 0x1ff, v3, v2
	s_wait_alu 0xfffd
	v_cndmask_b32_e32 v17, v18, v17, vcc_lo
	v_cmp_eq_u32_e32 vcc_lo, 0x40f, v15
	v_lshrrev_b32_e32 v15, 8, v3
	v_mul_f64_e32 v[4:5], s[22:23], v[4:5]
	v_bfe_u32 v18, v3, 20, 11
	v_lshrrev_b32_e32 v3, 16, v3
	s_wait_alu 0xfffd
	v_cndmask_b32_e32 v13, v13, v14, vcc_lo
	v_cmp_ne_u32_e32 vcc_lo, 0, v2
	v_and_b32_e32 v14, 7, v17
	s_delay_alu instid0(VALU_DEP_3)
	v_and_or_b32 v10, 0x8000, v10, v13
	v_and_b32_e32 v13, 0xffff, v21
	s_wait_alu 0xfffd
	v_cndmask_b32_e64 v2, 0, 1, vcc_lo
	v_cmp_lt_i32_e32 vcc_lo, 5, v14
	v_cmp_eq_u32_e64 s0, 3, v14
	v_lshl_or_b32 v10, v10, 16, v13
	v_lshrrev_b32_e32 v13, 2, v17
	v_and_or_b32 v2, 0xffe, v15, v2
	v_sub_nc_u32_e32 v15, 0x3f1, v18
	s_or_b32 vcc_lo, s0, vcc_lo
	v_and_or_b32 v8, 0x1ff, v9, v8
	s_wait_alu 0xfffe
	v_add_co_ci_u32_e32 v13, vcc_lo, 0, v13, vcc_lo
	v_or_b32_e32 v14, 0x1000, v2
	v_med3_i32 v15, v15, 0, 13
	v_cmp_ne_u32_e32 vcc_lo, 0, v11
	v_lshrrev_b32_e32 v21, 8, v9
	v_bfe_u32 v22, v9, 20, 11
	v_lshrrev_b32_e32 v9, 16, v9
	v_lshrrev_b32_e32 v17, v15, v14
	s_wait_alu 0xfffd
	v_cndmask_b32_e64 v11, 0, 1, vcc_lo
	v_cmp_gt_i32_e32 vcc_lo, 31, v19
	s_delay_alu instid0(VALU_DEP_3) | instskip(NEXT) | instid1(VALU_DEP_3)
	v_lshlrev_b32_e32 v15, v15, v17
	v_lshl_or_b32 v11, v11, 9, 0x7c00
	s_wait_alu 0xfffd
	v_cndmask_b32_e32 v13, 0x7c00, v13, vcc_lo
	v_cmp_ne_u32_e32 vcc_lo, 0, v8
	v_and_or_b32 v4, 0x1ff, v5, v4
	s_wait_alu 0xfffd
	v_cndmask_b32_e64 v8, 0, 1, vcc_lo
	v_cmp_ne_u32_e32 vcc_lo, v15, v14
	v_add_nc_u32_e32 v15, 0xfffffc10, v18
	v_sub_nc_u32_e32 v18, 0x3f1, v22
	s_delay_alu instid0(VALU_DEP_4)
	v_and_or_b32 v8, 0xffe, v21, v8
	s_wait_alu 0xfffd
	v_cndmask_b32_e64 v14, 0, 1, vcc_lo
	v_cmp_eq_u32_e32 vcc_lo, 0x40f, v19
	v_med3_i32 v18, v18, 0, 13
	v_lshrrev_b32_e32 v19, 8, v5
	v_bfe_u32 v21, v5, 20, 11
	v_lshrrev_b32_e32 v5, 16, v5
	s_wait_alu 0xfffd
	v_cndmask_b32_e32 v11, v13, v11, vcc_lo
	v_or_b32_e32 v13, v17, v14
	v_lshl_or_b32 v14, v15, 12, v2
	v_or_b32_e32 v17, 0x1000, v8
	v_cmp_gt_i32_e32 vcc_lo, 1, v15
	v_and_or_b32 v11, 0x8000, v12, v11
	v_sub_nc_u32_e32 v12, 0x3f1, v21
	s_wait_alu 0xfffd
	v_cndmask_b32_e32 v13, v14, v13, vcc_lo
	v_lshrrev_b32_e32 v14, v18, v17
	v_cmp_ne_u32_e32 vcc_lo, 0, v4
	v_med3_i32 v12, v12, 0, 13
	v_and_b32_e32 v11, 0xffff, v11
	v_and_b32_e32 v23, 7, v13
	v_lshlrev_b32_e32 v18, v18, v14
	s_wait_alu 0xfffd
	v_cndmask_b32_e64 v4, 0, 1, vcc_lo
	v_lshrrev_b32_e32 v13, 2, v13
	v_cmp_lt_i32_e32 vcc_lo, 5, v23
	v_cmp_ne_u32_e64 s0, v18, v17
	s_delay_alu instid0(VALU_DEP_4) | instskip(SKIP_2) | instid1(VALU_DEP_3)
	v_and_or_b32 v4, 0xffe, v19, v4
	v_add_nc_u32_e32 v19, 0xfffffc10, v22
	s_wait_alu 0xf1ff
	v_cndmask_b32_e64 v17, 0, 1, s0
	v_cmp_eq_u32_e64 s0, 3, v23
	v_or_b32_e32 v18, 0x1000, v4
	v_lshl_or_b32 v22, v19, 12, v8
	s_delay_alu instid0(VALU_DEP_4) | instskip(NEXT) | instid1(VALU_DEP_4)
	v_or_b32_e32 v14, v14, v17
	s_or_b32 vcc_lo, s0, vcc_lo
	s_delay_alu instid0(VALU_DEP_3) | instskip(SKIP_3) | instid1(VALU_DEP_3)
	v_lshrrev_b32_e32 v17, v12, v18
	s_wait_alu 0xfffe
	v_add_co_ci_u32_e32 v13, vcc_lo, 0, v13, vcc_lo
	v_cmp_gt_i32_e32 vcc_lo, 1, v19
	v_lshlrev_b32_e32 v12, v12, v17
	s_wait_alu 0xfffd
	v_cndmask_b32_e32 v14, v22, v14, vcc_lo
	v_cmp_ne_u32_e32 vcc_lo, 0, v2
	s_wait_alu 0xfffd
	v_cndmask_b32_e64 v2, 0, 1, vcc_lo
	v_cmp_ne_u32_e32 vcc_lo, v12, v18
	v_add_nc_u32_e32 v18, 0xfffffc10, v21
	v_and_b32_e32 v21, 7, v14
	s_delay_alu instid0(VALU_DEP_4)
	v_lshl_or_b32 v2, v2, 9, 0x7c00
	s_wait_alu 0xfffd
	v_cndmask_b32_e64 v12, 0, 1, vcc_lo
	v_cmp_gt_i32_e32 vcc_lo, 31, v15
	v_cmp_gt_i32_e64 s1, 1, v18
	v_cmp_eq_u32_e64 s0, 3, v21
	s_delay_alu instid0(VALU_DEP_4)
	v_or_b32_e32 v12, v17, v12
	s_wait_alu 0xfffd
	v_cndmask_b32_e32 v13, 0x7c00, v13, vcc_lo
	v_lshl_or_b32 v17, v18, 12, v4
	v_cmp_lt_i32_e32 vcc_lo, 5, v21
	s_wait_alu 0xf1ff
	s_delay_alu instid0(VALU_DEP_2) | instskip(SKIP_2) | instid1(VALU_DEP_1)
	v_cndmask_b32_e64 v12, v17, v12, s1
	v_cmp_eq_u32_e64 s1, 0x40f, v15
	s_or_b32 vcc_lo, s0, vcc_lo
	v_cndmask_b32_e64 v2, v13, v2, s1
	v_lshrrev_b32_e32 v13, 2, v14
	v_and_b32_e32 v14, 7, v12
	v_lshrrev_b32_e32 v12, 2, v12
	v_cmp_gt_i32_e64 s1, 31, v19
	s_wait_alu 0xfffe
	v_add_co_ci_u32_e32 v13, vcc_lo, 0, v13, vcc_lo
	v_cmp_ne_u32_e32 vcc_lo, 0, v8
	v_cmp_eq_u32_e64 s0, 3, v14
	s_wait_alu 0xf1ff
	s_delay_alu instid0(VALU_DEP_3) | instskip(SKIP_3) | instid1(VALU_DEP_2)
	v_cndmask_b32_e64 v13, 0x7c00, v13, s1
	s_wait_alu 0xfffd
	v_cndmask_b32_e64 v8, 0, 1, vcc_lo
	v_cmp_lt_i32_e32 vcc_lo, 5, v14
	v_lshl_or_b32 v8, v8, 9, 0x7c00
	s_or_b32 vcc_lo, s0, vcc_lo
	s_wait_alu 0xfffe
	v_add_co_ci_u32_e32 v12, vcc_lo, 0, v12, vcc_lo
	v_cmp_ne_u32_e32 vcc_lo, 0, v4
	s_wait_alu 0xfffd
	v_cndmask_b32_e64 v4, 0, 1, vcc_lo
	v_cmp_eq_u32_e32 vcc_lo, 0x40f, v19
	s_delay_alu instid0(VALU_DEP_2) | instskip(SKIP_4) | instid1(VALU_DEP_3)
	v_lshl_or_b32 v4, v4, 9, 0x7c00
	s_wait_alu 0xfffd
	v_cndmask_b32_e32 v8, v13, v8, vcc_lo
	v_cmp_gt_i32_e32 vcc_lo, 31, v18
	v_and_or_b32 v13, 0x8000, v3, v2
	v_and_or_b32 v8, 0x8000, v9, v8
	s_wait_alu 0xfffd
	v_cndmask_b32_e32 v12, 0x7c00, v12, vcc_lo
	v_cmp_eq_u32_e32 vcc_lo, 0x40f, v18
	v_lshl_or_b32 v11, v13, 16, v11
	v_and_b32_e32 v8, 0xffff, v8
	s_wait_alu 0xfffd
	v_cndmask_b32_e32 v4, v12, v4, vcc_lo
	v_add_co_u32 v2, vcc_lo, v6, s20
	s_wait_alu 0xfffd
	v_add_co_ci_u32_e32 v3, vcc_lo, s21, v7, vcc_lo
	s_delay_alu instid0(VALU_DEP_3) | instskip(NEXT) | instid1(VALU_DEP_3)
	v_and_or_b32 v9, 0x8000, v5, v4
	v_add_co_u32 v4, vcc_lo, v2, s20
	s_wait_alu 0xfffd
	s_delay_alu instid0(VALU_DEP_3) | instskip(NEXT) | instid1(VALU_DEP_3)
	v_add_co_ci_u32_e32 v5, vcc_lo, s21, v3, vcc_lo
	v_lshl_or_b32 v12, v9, 16, v8
	s_delay_alu instid0(VALU_DEP_3) | instskip(SKIP_1) | instid1(VALU_DEP_3)
	v_add_co_u32 v8, vcc_lo, v4, s20
	s_wait_alu 0xfffd
	v_add_co_ci_u32_e32 v9, vcc_lo, s21, v5, vcc_lo
	global_store_b32 v[0:1], v20, off
	global_store_b32 v[6:7], v16, off
	;; [unrolled: 1-line block ×5, first 2 shown]
.LBB0_15:
	s_nop 0
	s_sendmsg sendmsg(MSG_DEALLOC_VGPRS)
	s_endpgm
	.section	.rodata,"a",@progbits
	.p2align	6, 0x0
	.amdhsa_kernel bluestein_single_fwd_len594_dim1_half_op_CI_CI
		.amdhsa_group_segment_fixed_size 2376
		.amdhsa_private_segment_fixed_size 0
		.amdhsa_kernarg_size 104
		.amdhsa_user_sgpr_count 2
		.amdhsa_user_sgpr_dispatch_ptr 0
		.amdhsa_user_sgpr_queue_ptr 0
		.amdhsa_user_sgpr_kernarg_segment_ptr 1
		.amdhsa_user_sgpr_dispatch_id 0
		.amdhsa_user_sgpr_private_segment_size 0
		.amdhsa_wavefront_size32 1
		.amdhsa_uses_dynamic_stack 0
		.amdhsa_enable_private_segment 0
		.amdhsa_system_sgpr_workgroup_id_x 1
		.amdhsa_system_sgpr_workgroup_id_y 0
		.amdhsa_system_sgpr_workgroup_id_z 0
		.amdhsa_system_sgpr_workgroup_info 0
		.amdhsa_system_vgpr_workitem_id 0
		.amdhsa_next_free_vgpr 129
		.amdhsa_next_free_sgpr 24
		.amdhsa_reserve_vcc 1
		.amdhsa_float_round_mode_32 0
		.amdhsa_float_round_mode_16_64 0
		.amdhsa_float_denorm_mode_32 3
		.amdhsa_float_denorm_mode_16_64 3
		.amdhsa_fp16_overflow 0
		.amdhsa_workgroup_processor_mode 1
		.amdhsa_memory_ordered 1
		.amdhsa_forward_progress 0
		.amdhsa_round_robin_scheduling 0
		.amdhsa_exception_fp_ieee_invalid_op 0
		.amdhsa_exception_fp_denorm_src 0
		.amdhsa_exception_fp_ieee_div_zero 0
		.amdhsa_exception_fp_ieee_overflow 0
		.amdhsa_exception_fp_ieee_underflow 0
		.amdhsa_exception_fp_ieee_inexact 0
		.amdhsa_exception_int_div_zero 0
	.end_amdhsa_kernel
	.text
.Lfunc_end0:
	.size	bluestein_single_fwd_len594_dim1_half_op_CI_CI, .Lfunc_end0-bluestein_single_fwd_len594_dim1_half_op_CI_CI
                                        ; -- End function
	.section	.AMDGPU.csdata,"",@progbits
; Kernel info:
; codeLenInByte = 17072
; NumSgprs: 26
; NumVgprs: 129
; ScratchSize: 0
; MemoryBound: 0
; FloatMode: 240
; IeeeMode: 1
; LDSByteSize: 2376 bytes/workgroup (compile time only)
; SGPRBlocks: 3
; VGPRBlocks: 16
; NumSGPRsForWavesPerEU: 26
; NumVGPRsForWavesPerEU: 129
; Occupancy: 10
; WaveLimiterHint : 1
; COMPUTE_PGM_RSRC2:SCRATCH_EN: 0
; COMPUTE_PGM_RSRC2:USER_SGPR: 2
; COMPUTE_PGM_RSRC2:TRAP_HANDLER: 0
; COMPUTE_PGM_RSRC2:TGID_X_EN: 1
; COMPUTE_PGM_RSRC2:TGID_Y_EN: 0
; COMPUTE_PGM_RSRC2:TGID_Z_EN: 0
; COMPUTE_PGM_RSRC2:TIDIG_COMP_CNT: 0
	.text
	.p2alignl 7, 3214868480
	.fill 96, 4, 3214868480
	.type	__hip_cuid_cf24c909fa3f2fc3,@object ; @__hip_cuid_cf24c909fa3f2fc3
	.section	.bss,"aw",@nobits
	.globl	__hip_cuid_cf24c909fa3f2fc3
__hip_cuid_cf24c909fa3f2fc3:
	.byte	0                               ; 0x0
	.size	__hip_cuid_cf24c909fa3f2fc3, 1

	.ident	"AMD clang version 19.0.0git (https://github.com/RadeonOpenCompute/llvm-project roc-6.4.0 25133 c7fe45cf4b819c5991fe208aaa96edf142730f1d)"
	.section	".note.GNU-stack","",@progbits
	.addrsig
	.addrsig_sym __hip_cuid_cf24c909fa3f2fc3
	.amdgpu_metadata
---
amdhsa.kernels:
  - .args:
      - .actual_access:  read_only
        .address_space:  global
        .offset:         0
        .size:           8
        .value_kind:     global_buffer
      - .actual_access:  read_only
        .address_space:  global
        .offset:         8
        .size:           8
        .value_kind:     global_buffer
      - .actual_access:  read_only
        .address_space:  global
        .offset:         16
        .size:           8
        .value_kind:     global_buffer
      - .actual_access:  read_only
        .address_space:  global
        .offset:         24
        .size:           8
        .value_kind:     global_buffer
      - .actual_access:  read_only
        .address_space:  global
        .offset:         32
        .size:           8
        .value_kind:     global_buffer
      - .offset:         40
        .size:           8
        .value_kind:     by_value
      - .address_space:  global
        .offset:         48
        .size:           8
        .value_kind:     global_buffer
      - .address_space:  global
        .offset:         56
        .size:           8
        .value_kind:     global_buffer
      - .address_space:  global
        .offset:         64
        .size:           8
        .value_kind:     global_buffer
      - .address_space:  global
        .offset:         72
        .size:           8
        .value_kind:     global_buffer
      - .offset:         80
        .size:           4
        .value_kind:     by_value
      - .address_space:  global
        .offset:         88
        .size:           8
        .value_kind:     global_buffer
      - .address_space:  global
        .offset:         96
        .size:           8
        .value_kind:     global_buffer
    .group_segment_fixed_size: 2376
    .kernarg_segment_align: 8
    .kernarg_segment_size: 104
    .language:       OpenCL C
    .language_version:
      - 2
      - 0
    .max_flat_workgroup_size: 99
    .name:           bluestein_single_fwd_len594_dim1_half_op_CI_CI
    .private_segment_fixed_size: 0
    .sgpr_count:     26
    .sgpr_spill_count: 0
    .symbol:         bluestein_single_fwd_len594_dim1_half_op_CI_CI.kd
    .uniform_work_group_size: 1
    .uses_dynamic_stack: false
    .vgpr_count:     129
    .vgpr_spill_count: 0
    .wavefront_size: 32
    .workgroup_processor_mode: 1
amdhsa.target:   amdgcn-amd-amdhsa--gfx1201
amdhsa.version:
  - 1
  - 2
...

	.end_amdgpu_metadata
